;; amdgpu-corpus repo=ROCm/rocFFT kind=compiled arch=gfx1030 opt=O3
	.text
	.amdgcn_target "amdgcn-amd-amdhsa--gfx1030"
	.amdhsa_code_object_version 6
	.protected	fft_rtc_fwd_len3600_factors_10_10_6_6_wgs_120_tpt_120_halfLds_dp_op_CI_CI_unitstride_sbrr_C2R_dirReg ; -- Begin function fft_rtc_fwd_len3600_factors_10_10_6_6_wgs_120_tpt_120_halfLds_dp_op_CI_CI_unitstride_sbrr_C2R_dirReg
	.globl	fft_rtc_fwd_len3600_factors_10_10_6_6_wgs_120_tpt_120_halfLds_dp_op_CI_CI_unitstride_sbrr_C2R_dirReg
	.p2align	8
	.type	fft_rtc_fwd_len3600_factors_10_10_6_6_wgs_120_tpt_120_halfLds_dp_op_CI_CI_unitstride_sbrr_C2R_dirReg,@function
fft_rtc_fwd_len3600_factors_10_10_6_6_wgs_120_tpt_120_halfLds_dp_op_CI_CI_unitstride_sbrr_C2R_dirReg: ; @fft_rtc_fwd_len3600_factors_10_10_6_6_wgs_120_tpt_120_halfLds_dp_op_CI_CI_unitstride_sbrr_C2R_dirReg
; %bb.0:
	s_clause 0x2
	s_load_dwordx4 s[12:15], s[4:5], 0x0
	s_load_dwordx4 s[8:11], s[4:5], 0x58
	;; [unrolled: 1-line block ×3, first 2 shown]
	v_mul_u32_u24_e32 v1, 0x223, v0
	v_mov_b32_e32 v3, 0
	s_mov_b64 s[30:31], s[2:3]
	s_mov_b64 s[28:29], s[0:1]
	v_add_nc_u32_sdwa v5, s6, v1 dst_sel:DWORD dst_unused:UNUSED_PAD src0_sel:DWORD src1_sel:WORD_1
	v_mov_b32_e32 v1, 0
	v_mov_b32_e32 v6, v3
	;; [unrolled: 1-line block ×3, first 2 shown]
	s_add_u32 s28, s28, s7
	s_addc_u32 s29, s29, 0
	s_waitcnt lgkmcnt(0)
	v_cmp_lt_u64_e64 s0, s[14:15], 2
	s_and_b32 vcc_lo, exec_lo, s0
	s_cbranch_vccnz .LBB0_8
; %bb.1:
	s_load_dwordx2 s[0:1], s[4:5], 0x10
	v_mov_b32_e32 v1, 0
	v_mov_b32_e32 v2, 0
	s_add_u32 s2, s18, 8
	s_addc_u32 s3, s19, 0
	s_add_u32 s6, s16, 8
	s_addc_u32 s7, s17, 0
	v_mov_b32_e32 v139, v2
	v_mov_b32_e32 v138, v1
	s_mov_b64 s[22:23], 1
	s_waitcnt lgkmcnt(0)
	s_add_u32 s20, s0, 8
	s_addc_u32 s21, s1, 0
.LBB0_2:                                ; =>This Inner Loop Header: Depth=1
	s_load_dwordx2 s[24:25], s[20:21], 0x0
                                        ; implicit-def: $vgpr140_vgpr141
	s_mov_b32 s0, exec_lo
	s_waitcnt lgkmcnt(0)
	v_or_b32_e32 v4, s25, v6
	v_cmpx_ne_u64_e32 0, v[3:4]
	s_xor_b32 s1, exec_lo, s0
	s_cbranch_execz .LBB0_4
; %bb.3:                                ;   in Loop: Header=BB0_2 Depth=1
	v_cvt_f32_u32_e32 v4, s24
	v_cvt_f32_u32_e32 v7, s25
	s_sub_u32 s0, 0, s24
	s_subb_u32 s26, 0, s25
	v_fmac_f32_e32 v4, 0x4f800000, v7
	v_rcp_f32_e32 v4, v4
	v_mul_f32_e32 v4, 0x5f7ffffc, v4
	v_mul_f32_e32 v7, 0x2f800000, v4
	v_trunc_f32_e32 v7, v7
	v_fmac_f32_e32 v4, 0xcf800000, v7
	v_cvt_u32_f32_e32 v7, v7
	v_cvt_u32_f32_e32 v4, v4
	v_mul_lo_u32 v8, s0, v7
	v_mul_hi_u32 v9, s0, v4
	v_mul_lo_u32 v10, s26, v4
	v_add_nc_u32_e32 v8, v9, v8
	v_mul_lo_u32 v9, s0, v4
	v_add_nc_u32_e32 v8, v8, v10
	v_mul_hi_u32 v10, v4, v9
	v_mul_lo_u32 v11, v4, v8
	v_mul_hi_u32 v12, v4, v8
	v_mul_hi_u32 v13, v7, v9
	v_mul_lo_u32 v9, v7, v9
	v_mul_hi_u32 v14, v7, v8
	v_mul_lo_u32 v8, v7, v8
	v_add_co_u32 v10, vcc_lo, v10, v11
	v_add_co_ci_u32_e32 v11, vcc_lo, 0, v12, vcc_lo
	v_add_co_u32 v9, vcc_lo, v10, v9
	v_add_co_ci_u32_e32 v9, vcc_lo, v11, v13, vcc_lo
	v_add_co_ci_u32_e32 v10, vcc_lo, 0, v14, vcc_lo
	v_add_co_u32 v8, vcc_lo, v9, v8
	v_add_co_ci_u32_e32 v9, vcc_lo, 0, v10, vcc_lo
	v_add_co_u32 v4, vcc_lo, v4, v8
	v_add_co_ci_u32_e32 v7, vcc_lo, v7, v9, vcc_lo
	v_mul_hi_u32 v8, s0, v4
	v_mul_lo_u32 v10, s26, v4
	v_mul_lo_u32 v9, s0, v7
	v_add_nc_u32_e32 v8, v8, v9
	v_mul_lo_u32 v9, s0, v4
	v_add_nc_u32_e32 v8, v8, v10
	v_mul_hi_u32 v10, v4, v9
	v_mul_lo_u32 v11, v4, v8
	v_mul_hi_u32 v12, v4, v8
	v_mul_hi_u32 v13, v7, v9
	v_mul_lo_u32 v9, v7, v9
	v_mul_hi_u32 v14, v7, v8
	v_mul_lo_u32 v8, v7, v8
	v_add_co_u32 v10, vcc_lo, v10, v11
	v_add_co_ci_u32_e32 v11, vcc_lo, 0, v12, vcc_lo
	v_add_co_u32 v9, vcc_lo, v10, v9
	v_add_co_ci_u32_e32 v9, vcc_lo, v11, v13, vcc_lo
	v_add_co_ci_u32_e32 v10, vcc_lo, 0, v14, vcc_lo
	v_add_co_u32 v8, vcc_lo, v9, v8
	v_add_co_ci_u32_e32 v9, vcc_lo, 0, v10, vcc_lo
	v_add_co_u32 v4, vcc_lo, v4, v8
	v_add_co_ci_u32_e32 v11, vcc_lo, v7, v9, vcc_lo
	v_mul_hi_u32 v13, v5, v4
	v_mad_u64_u32 v[9:10], null, v6, v4, 0
	v_mad_u64_u32 v[7:8], null, v5, v11, 0
	;; [unrolled: 1-line block ×3, first 2 shown]
	v_add_co_u32 v4, vcc_lo, v13, v7
	v_add_co_ci_u32_e32 v7, vcc_lo, 0, v8, vcc_lo
	v_add_co_u32 v4, vcc_lo, v4, v9
	v_add_co_ci_u32_e32 v4, vcc_lo, v7, v10, vcc_lo
	v_add_co_ci_u32_e32 v7, vcc_lo, 0, v12, vcc_lo
	v_add_co_u32 v4, vcc_lo, v4, v11
	v_add_co_ci_u32_e32 v9, vcc_lo, 0, v7, vcc_lo
	v_mul_lo_u32 v10, s25, v4
	v_mad_u64_u32 v[7:8], null, s24, v4, 0
	v_mul_lo_u32 v11, s24, v9
	v_sub_co_u32 v7, vcc_lo, v5, v7
	v_add3_u32 v8, v8, v11, v10
	v_sub_nc_u32_e32 v10, v6, v8
	v_subrev_co_ci_u32_e64 v10, s0, s25, v10, vcc_lo
	v_add_co_u32 v11, s0, v4, 2
	v_add_co_ci_u32_e64 v12, s0, 0, v9, s0
	v_sub_co_u32 v13, s0, v7, s24
	v_sub_co_ci_u32_e32 v8, vcc_lo, v6, v8, vcc_lo
	v_subrev_co_ci_u32_e64 v10, s0, 0, v10, s0
	v_cmp_le_u32_e32 vcc_lo, s24, v13
	v_cmp_eq_u32_e64 s0, s25, v8
	v_cndmask_b32_e64 v13, 0, -1, vcc_lo
	v_cmp_le_u32_e32 vcc_lo, s25, v10
	v_cndmask_b32_e64 v14, 0, -1, vcc_lo
	v_cmp_le_u32_e32 vcc_lo, s24, v7
	;; [unrolled: 2-line block ×3, first 2 shown]
	v_cndmask_b32_e64 v15, 0, -1, vcc_lo
	v_cmp_eq_u32_e32 vcc_lo, s25, v10
	v_cndmask_b32_e64 v7, v15, v7, s0
	v_cndmask_b32_e32 v10, v14, v13, vcc_lo
	v_add_co_u32 v13, vcc_lo, v4, 1
	v_add_co_ci_u32_e32 v14, vcc_lo, 0, v9, vcc_lo
	v_cmp_ne_u32_e32 vcc_lo, 0, v10
	v_cndmask_b32_e32 v8, v14, v12, vcc_lo
	v_cndmask_b32_e32 v10, v13, v11, vcc_lo
	v_cmp_ne_u32_e32 vcc_lo, 0, v7
	v_cndmask_b32_e32 v141, v9, v8, vcc_lo
	v_cndmask_b32_e32 v140, v4, v10, vcc_lo
.LBB0_4:                                ;   in Loop: Header=BB0_2 Depth=1
	s_andn2_saveexec_b32 s0, s1
	s_cbranch_execz .LBB0_6
; %bb.5:                                ;   in Loop: Header=BB0_2 Depth=1
	v_cvt_f32_u32_e32 v4, s24
	s_sub_i32 s1, 0, s24
	v_mov_b32_e32 v141, v3
	v_rcp_iflag_f32_e32 v4, v4
	v_mul_f32_e32 v4, 0x4f7ffffe, v4
	v_cvt_u32_f32_e32 v4, v4
	v_mul_lo_u32 v7, s1, v4
	v_mul_hi_u32 v7, v4, v7
	v_add_nc_u32_e32 v4, v4, v7
	v_mul_hi_u32 v4, v5, v4
	v_mul_lo_u32 v7, v4, s24
	v_add_nc_u32_e32 v8, 1, v4
	v_sub_nc_u32_e32 v7, v5, v7
	v_subrev_nc_u32_e32 v9, s24, v7
	v_cmp_le_u32_e32 vcc_lo, s24, v7
	v_cndmask_b32_e32 v7, v7, v9, vcc_lo
	v_cndmask_b32_e32 v4, v4, v8, vcc_lo
	v_cmp_le_u32_e32 vcc_lo, s24, v7
	v_add_nc_u32_e32 v8, 1, v4
	v_cndmask_b32_e32 v140, v4, v8, vcc_lo
.LBB0_6:                                ;   in Loop: Header=BB0_2 Depth=1
	s_or_b32 exec_lo, exec_lo, s0
	v_mul_lo_u32 v4, v141, s24
	v_mul_lo_u32 v9, v140, s25
	s_load_dwordx2 s[0:1], s[6:7], 0x0
	v_mad_u64_u32 v[7:8], null, v140, s24, 0
	s_load_dwordx2 s[24:25], s[2:3], 0x0
	s_add_u32 s22, s22, 1
	s_addc_u32 s23, s23, 0
	s_add_u32 s2, s2, 8
	s_addc_u32 s3, s3, 0
	s_add_u32 s6, s6, 8
	v_add3_u32 v4, v8, v9, v4
	v_sub_co_u32 v5, vcc_lo, v5, v7
	s_addc_u32 s7, s7, 0
	s_add_u32 s20, s20, 8
	v_sub_co_ci_u32_e32 v4, vcc_lo, v6, v4, vcc_lo
	s_addc_u32 s21, s21, 0
	s_waitcnt lgkmcnt(0)
	v_mul_lo_u32 v6, s0, v4
	v_mul_lo_u32 v7, s1, v5
	v_mad_u64_u32 v[1:2], null, s0, v5, v[1:2]
	v_mul_lo_u32 v4, s24, v4
	v_mul_lo_u32 v8, s25, v5
	v_mad_u64_u32 v[138:139], null, s24, v5, v[138:139]
	v_cmp_ge_u64_e64 s0, s[22:23], s[14:15]
	v_add3_u32 v2, v7, v2, v6
	v_add3_u32 v139, v8, v139, v4
	s_and_b32 vcc_lo, exec_lo, s0
	s_cbranch_vccnz .LBB0_9
; %bb.7:                                ;   in Loop: Header=BB0_2 Depth=1
	v_mov_b32_e32 v5, v140
	v_mov_b32_e32 v6, v141
	s_branch .LBB0_2
.LBB0_8:
	v_mov_b32_e32 v139, v2
	v_mov_b32_e32 v141, v6
	;; [unrolled: 1-line block ×4, first 2 shown]
.LBB0_9:
	s_load_dwordx2 s[0:1], s[4:5], 0x28
	v_mul_hi_u32 v3, 0x2222223, v0
	s_lshl_b64 s[4:5], s[14:15], 3
                                        ; implicit-def: $vgpr136
	s_add_u32 s2, s18, s4
	s_addc_u32 s3, s19, s5
	s_waitcnt lgkmcnt(0)
	v_cmp_gt_u64_e32 vcc_lo, s[0:1], v[140:141]
	v_cmp_le_u64_e64 s0, s[0:1], v[140:141]
	s_and_saveexec_b32 s1, s0
	s_xor_b32 s0, exec_lo, s1
; %bb.10:
	v_mul_u32_u24_e32 v1, 0x78, v3
                                        ; implicit-def: $vgpr3
	v_sub_nc_u32_e32 v136, v0, v1
                                        ; implicit-def: $vgpr0
                                        ; implicit-def: $vgpr1_vgpr2
; %bb.11:
	s_or_saveexec_b32 s1, s0
	s_load_dwordx2 s[2:3], s[2:3], 0x0
	s_xor_b32 exec_lo, exec_lo, s1
	s_cbranch_execz .LBB0_15
; %bb.12:
	s_add_u32 s4, s16, s4
	s_addc_u32 s5, s17, s5
	v_lshlrev_b64 v[1:2], 4, v[1:2]
	s_load_dwordx2 s[4:5], s[4:5], 0x0
	s_waitcnt lgkmcnt(0)
	v_mul_lo_u32 v6, s5, v140
	v_mul_lo_u32 v7, s4, v141
	v_mad_u64_u32 v[4:5], null, s4, v140, 0
	v_add3_u32 v5, v5, v7, v6
	v_mul_u32_u24_e32 v6, 0x78, v3
	v_lshlrev_b64 v[3:4], 4, v[4:5]
	v_sub_nc_u32_e32 v136, v0, v6
	v_lshlrev_b32_e32 v122, 4, v136
	v_add_co_u32 v0, s0, s8, v3
	v_add_co_ci_u32_e64 v3, s0, s9, v4, s0
	v_add_co_u32 v0, s0, v0, v1
	v_add_co_ci_u32_e64 v1, s0, v3, v2, s0
	v_or_b32_e32 v2, 0x7800, v122
	v_add_co_u32 v74, s0, v0, v122
	v_add_co_ci_u32_e64 v75, s0, 0, v1, s0
	v_add_co_u32 v42, s0, v0, v2
	v_add_co_ci_u32_e64 v43, s0, 0, v1, s0
	;; [unrolled: 2-line block ×29, first 2 shown]
	s_clause 0x1d
	global_load_dwordx4 v[2:5], v[74:75], off
	global_load_dwordx4 v[6:9], v[74:75], off offset:1920
	global_load_dwordx4 v[10:13], v[10:11], off offset:1792
	global_load_dwordx4 v[14:17], v[14:15], off offset:1664
	global_load_dwordx4 v[18:21], v[18:19], off offset:1536
	global_load_dwordx4 v[22:25], v[22:23], off offset:1408
	global_load_dwordx4 v[26:29], v[26:27], off offset:1280
	global_load_dwordx4 v[30:33], v[30:31], off offset:1152
	global_load_dwordx4 v[34:37], v[34:35], off offset:1024
	global_load_dwordx4 v[38:41], v[38:39], off offset:896
	global_load_dwordx4 v[42:45], v[42:43], off
	global_load_dwordx4 v[46:49], v[46:47], off offset:1920
	global_load_dwordx4 v[50:53], v[50:51], off offset:768
	;; [unrolled: 1-line block ×19, first 2 shown]
	v_add_nc_u32_e32 v122, 0, v122
	v_cmp_eq_u32_e64 s0, 0x77, v136
	s_waitcnt vmcnt(29)
	ds_write_b128 v122, v[2:5]
	s_waitcnt vmcnt(28)
	ds_write_b128 v122, v[6:9] offset:1920
	s_waitcnt vmcnt(19)
	ds_write_b128 v122, v[42:45] offset:30720
	ds_write_b128 v122, v[10:13] offset:3840
	;; [unrolled: 1-line block ×9, first 2 shown]
	s_waitcnt vmcnt(17)
	ds_write_b128 v122, v[50:53] offset:19200
	s_waitcnt vmcnt(16)
	ds_write_b128 v122, v[54:57] offset:21120
	;; [unrolled: 2-line block ×6, first 2 shown]
	ds_write_b128 v122, v[46:49] offset:32640
	s_waitcnt vmcnt(11)
	ds_write_b128 v122, v[74:77] offset:34560
	s_waitcnt vmcnt(10)
	;; [unrolled: 2-line block ×12, first 2 shown]
	ds_write_b128 v122, v[118:121] offset:55680
	s_and_saveexec_b32 s4, s0
	s_cbranch_execz .LBB0_14
; %bb.13:
	v_add_co_u32 v0, s0, 0xe000, v0
	v_add_co_ci_u32_e64 v1, s0, 0, v1, s0
	v_mov_b32_e32 v4, 0
	v_mov_b32_e32 v136, 0x77
	global_load_dwordx4 v[0:3], v[0:1], off offset:256
	s_waitcnt vmcnt(0)
	ds_write_b128 v4, v[0:3] offset:57600
.LBB0_14:
	s_or_b32 exec_lo, exec_lo, s4
.LBB0_15:
	s_or_b32 exec_lo, exec_lo, s1
	v_lshlrev_b32_e32 v0, 4, v136
	s_waitcnt lgkmcnt(0)
	s_barrier
	buffer_gl0_inv
	s_add_u32 s1, s12, 0xe060
	v_add_nc_u32_e32 v182, 0, v0
	v_sub_nc_u32_e32 v10, 0, v0
	s_addc_u32 s4, s13, 0
	s_mov_b32 s5, exec_lo
                                        ; implicit-def: $vgpr4_vgpr5
	ds_read_b64 v[6:7], v182
	ds_read_b64 v[8:9], v10 offset:57600
	s_waitcnt lgkmcnt(0)
	v_add_f64 v[0:1], v[6:7], v[8:9]
	v_add_f64 v[2:3], v[6:7], -v[8:9]
	v_cmpx_ne_u32_e32 0, v136
	s_xor_b32 s5, exec_lo, s5
	s_cbranch_execz .LBB0_17
; %bb.16:
	v_mov_b32_e32 v137, 0
	v_add_f64 v[13:14], v[6:7], v[8:9]
	v_add_f64 v[15:16], v[6:7], -v[8:9]
	v_lshlrev_b64 v[0:1], 4, v[136:137]
	v_add_co_u32 v0, s0, s1, v0
	v_add_co_ci_u32_e64 v1, s0, s4, v1, s0
	global_load_dwordx4 v[2:5], v[0:1], off
	ds_read_b64 v[0:1], v10 offset:57608
	ds_read_b64 v[11:12], v182 offset:8
	s_waitcnt lgkmcnt(0)
	v_add_f64 v[6:7], v[0:1], v[11:12]
	v_add_f64 v[0:1], v[11:12], -v[0:1]
	s_waitcnt vmcnt(0)
	v_fma_f64 v[8:9], v[15:16], v[4:5], v[13:14]
	v_fma_f64 v[11:12], -v[15:16], v[4:5], v[13:14]
	v_fma_f64 v[13:14], v[6:7], v[4:5], -v[0:1]
	v_fma_f64 v[4:5], v[6:7], v[4:5], v[0:1]
	v_fma_f64 v[0:1], -v[6:7], v[2:3], v[8:9]
	v_fma_f64 v[6:7], v[6:7], v[2:3], v[11:12]
	v_fma_f64 v[8:9], v[15:16], v[2:3], v[13:14]
	;; [unrolled: 1-line block ×3, first 2 shown]
	v_mov_b32_e32 v4, v136
	v_mov_b32_e32 v5, v137
	ds_write_b128 v10, v[6:9] offset:57600
.LBB0_17:
	s_andn2_saveexec_b32 s0, s5
	s_cbranch_execz .LBB0_19
; %bb.18:
	v_mov_b32_e32 v8, 0
	ds_read_b128 v[4:7], v8 offset:28800
	s_waitcnt lgkmcnt(0)
	v_add_f64 v[11:12], v[4:5], v[4:5]
	v_mul_f64 v[13:14], v[6:7], -2.0
	v_mov_b32_e32 v4, 0
	v_mov_b32_e32 v5, 0
	ds_write_b128 v8, v[11:14] offset:28800
.LBB0_19:
	s_or_b32 exec_lo, exec_lo, s0
	v_lshlrev_b64 v[4:5], 4, v[4:5]
	ds_write_b128 v182, v[0:3]
	s_mov_b32 s7, 0xbfee6f0e
	s_mov_b32 s8, 0x4755a5e
	;; [unrolled: 1-line block ×4, first 2 shown]
	v_add_co_u32 v4, s0, s1, v4
	v_add_co_ci_u32_e64 v5, s0, s4, v5, s0
	s_mov_b32 s4, 0x134454ff
	v_add_co_u32 v11, s0, 0x800, v4
	global_load_dwordx4 v[6:9], v[4:5], off offset:1920
	v_add_co_ci_u32_e64 v12, s0, 0, v5, s0
	v_add_co_u32 v15, s0, 0x1000, v4
	v_add_co_ci_u32_e64 v16, s0, 0, v5, s0
	global_load_dwordx4 v[11:14], v[11:12], off offset:1792
	v_add_co_u32 v23, s0, 0x1800, v4
	global_load_dwordx4 v[15:18], v[15:16], off offset:1664
	v_add_co_ci_u32_e64 v24, s0, 0, v5, s0
	ds_read_b128 v[0:3], v182 offset:1920
	ds_read_b128 v[19:22], v10 offset:55680
	s_mov_b32 s5, 0x3fee6f0e
	s_mov_b32 s6, s4
	global_load_dwordx4 v[23:26], v[23:24], off offset:1536
	s_mov_b32 s14, s8
	s_mov_b32 s16, 0x372fe950
	s_mov_b32 s17, 0x3fd3c6ef
	s_mov_b32 s18, 0x9b97f4a8
	s_mov_b32 s19, 0x3fe9e377
	s_waitcnt lgkmcnt(0)
	v_add_f64 v[27:28], v[0:1], v[19:20]
	v_add_f64 v[29:30], v[21:22], v[2:3]
	v_add_f64 v[31:32], v[0:1], -v[19:20]
	v_add_f64 v[0:1], v[2:3], -v[21:22]
	s_waitcnt vmcnt(3)
	v_fma_f64 v[2:3], v[31:32], v[8:9], v[27:28]
	v_fma_f64 v[19:20], v[29:30], v[8:9], v[0:1]
	v_fma_f64 v[21:22], -v[31:32], v[8:9], v[27:28]
	v_fma_f64 v[8:9], v[29:30], v[8:9], -v[0:1]
	v_add_co_u32 v27, s0, 0x2000, v4
	v_add_co_ci_u32_e64 v28, s0, 0, v5, s0
	v_fma_f64 v[0:1], -v[29:30], v[6:7], v[2:3]
	v_fma_f64 v[2:3], v[31:32], v[6:7], v[19:20]
	v_fma_f64 v[19:20], v[29:30], v[6:7], v[21:22]
	;; [unrolled: 1-line block ×3, first 2 shown]
	ds_write_b128 v182, v[0:3] offset:1920
	ds_write_b128 v10, v[19:22] offset:55680
	ds_read_b128 v[0:3], v182 offset:3840
	ds_read_b128 v[6:9], v10 offset:53760
	global_load_dwordx4 v[19:22], v[27:28], off offset:1408
	s_waitcnt lgkmcnt(0)
	v_add_f64 v[27:28], v[0:1], v[6:7]
	v_add_f64 v[29:30], v[8:9], v[2:3]
	v_add_f64 v[31:32], v[0:1], -v[6:7]
	v_add_f64 v[0:1], v[2:3], -v[8:9]
	s_waitcnt vmcnt(3)
	v_fma_f64 v[2:3], v[31:32], v[13:14], v[27:28]
	v_fma_f64 v[6:7], v[29:30], v[13:14], v[0:1]
	v_fma_f64 v[8:9], -v[31:32], v[13:14], v[27:28]
	v_fma_f64 v[13:14], v[29:30], v[13:14], -v[0:1]
	v_fma_f64 v[0:1], -v[29:30], v[11:12], v[2:3]
	v_fma_f64 v[2:3], v[31:32], v[11:12], v[6:7]
	v_fma_f64 v[6:7], v[29:30], v[11:12], v[8:9]
	v_fma_f64 v[8:9], v[31:32], v[11:12], v[13:14]
	v_add_co_u32 v11, s0, 0x2800, v4
	v_add_co_ci_u32_e64 v12, s0, 0, v5, s0
	ds_write_b128 v182, v[0:3] offset:3840
	ds_write_b128 v10, v[6:9] offset:53760
	ds_read_b128 v[0:3], v182 offset:5760
	ds_read_b128 v[6:9], v10 offset:51840
	global_load_dwordx4 v[11:14], v[11:12], off offset:1280
	s_waitcnt lgkmcnt(0)
	v_add_f64 v[27:28], v[0:1], v[6:7]
	v_add_f64 v[29:30], v[8:9], v[2:3]
	v_add_f64 v[31:32], v[0:1], -v[6:7]
	v_add_f64 v[0:1], v[2:3], -v[8:9]
	s_waitcnt vmcnt(3)
	v_fma_f64 v[2:3], v[31:32], v[17:18], v[27:28]
	v_fma_f64 v[6:7], v[29:30], v[17:18], v[0:1]
	v_fma_f64 v[8:9], -v[31:32], v[17:18], v[27:28]
	v_fma_f64 v[17:18], v[29:30], v[17:18], -v[0:1]
	v_fma_f64 v[0:1], -v[29:30], v[15:16], v[2:3]
	v_fma_f64 v[2:3], v[31:32], v[15:16], v[6:7]
	v_fma_f64 v[6:7], v[29:30], v[15:16], v[8:9]
	v_fma_f64 v[8:9], v[31:32], v[15:16], v[17:18]
	v_add_co_u32 v15, s0, 0x3000, v4
	v_add_co_ci_u32_e64 v16, s0, 0, v5, s0
	;; [unrolled: 21-line block ×9, first 2 shown]
	v_cmp_gt_u32_e64 s0, 0x64, v136
	ds_write_b128 v182, v[0:3] offset:19200
	ds_write_b128 v10, v[6:9] offset:38400
	ds_read_b128 v[0:3], v182 offset:21120
	ds_read_b128 v[4:7], v10 offset:36480
	global_load_dwordx4 v[11:14], v[11:12], off offset:256
	s_waitcnt lgkmcnt(0)
	v_add_f64 v[8:9], v[0:1], v[4:5]
	v_add_f64 v[27:28], v[6:7], v[2:3]
	v_add_f64 v[29:30], v[0:1], -v[4:5]
	v_add_f64 v[0:1], v[2:3], -v[6:7]
	s_waitcnt vmcnt(3)
	v_fma_f64 v[2:3], v[29:30], v[17:18], v[8:9]
	v_fma_f64 v[4:5], v[27:28], v[17:18], v[0:1]
	v_fma_f64 v[6:7], -v[29:30], v[17:18], v[8:9]
	v_fma_f64 v[8:9], v[27:28], v[17:18], -v[0:1]
	v_fma_f64 v[0:1], -v[27:28], v[15:16], v[2:3]
	v_fma_f64 v[2:3], v[29:30], v[15:16], v[4:5]
	v_fma_f64 v[4:5], v[27:28], v[15:16], v[6:7]
	v_fma_f64 v[6:7], v[29:30], v[15:16], v[8:9]
	ds_write_b128 v182, v[0:3] offset:21120
	ds_write_b128 v10, v[4:7] offset:36480
	ds_read_b128 v[0:3], v182 offset:23040
	ds_read_b128 v[4:7], v10 offset:34560
	s_waitcnt lgkmcnt(0)
	v_add_f64 v[8:9], v[0:1], v[4:5]
	v_add_f64 v[15:16], v[6:7], v[2:3]
	v_add_f64 v[17:18], v[0:1], -v[4:5]
	v_add_f64 v[0:1], v[2:3], -v[6:7]
	s_waitcnt vmcnt(2)
	v_fma_f64 v[2:3], v[17:18], v[25:26], v[8:9]
	v_fma_f64 v[4:5], v[15:16], v[25:26], v[0:1]
	v_fma_f64 v[6:7], -v[17:18], v[25:26], v[8:9]
	v_fma_f64 v[8:9], v[15:16], v[25:26], -v[0:1]
	v_fma_f64 v[0:1], -v[15:16], v[23:24], v[2:3]
	v_fma_f64 v[2:3], v[17:18], v[23:24], v[4:5]
	v_fma_f64 v[4:5], v[15:16], v[23:24], v[6:7]
	v_fma_f64 v[6:7], v[17:18], v[23:24], v[8:9]
	ds_write_b128 v182, v[0:3] offset:23040
	ds_write_b128 v10, v[4:7] offset:34560
	ds_read_b128 v[0:3], v182 offset:24960
	ds_read_b128 v[4:7], v10 offset:32640
	;; [unrolled: 18-line block ×3, first 2 shown]
	s_waitcnt lgkmcnt(0)
	v_add_f64 v[8:9], v[0:1], v[4:5]
	v_add_f64 v[15:16], v[6:7], v[2:3]
	v_add_f64 v[17:18], v[0:1], -v[4:5]
	v_add_f64 v[0:1], v[2:3], -v[6:7]
	s_waitcnt vmcnt(0)
	v_fma_f64 v[2:3], v[17:18], v[13:14], v[8:9]
	v_fma_f64 v[4:5], v[15:16], v[13:14], v[0:1]
	v_fma_f64 v[6:7], -v[17:18], v[13:14], v[8:9]
	v_fma_f64 v[8:9], v[15:16], v[13:14], -v[0:1]
	v_fma_f64 v[0:1], -v[15:16], v[11:12], v[2:3]
	v_fma_f64 v[2:3], v[17:18], v[11:12], v[4:5]
	v_fma_f64 v[4:5], v[15:16], v[11:12], v[6:7]
	;; [unrolled: 1-line block ×3, first 2 shown]
	ds_write_b128 v182, v[0:3] offset:26880
	ds_write_b128 v10, v[4:7] offset:30720
	s_waitcnt lgkmcnt(0)
	s_barrier
	buffer_gl0_inv
	s_barrier
	buffer_gl0_inv
	ds_read_b128 v[0:3], v182 offset:23040
	ds_read_b128 v[4:7], v182 offset:34560
	;; [unrolled: 1-line block ×4, first 2 shown]
	ds_read_b128 v[16:19], v182
	ds_read_b128 v[20:23], v182 offset:13440
	ds_read_b128 v[24:27], v182 offset:24960
	;; [unrolled: 1-line block ×20, first 2 shown]
	s_waitcnt lgkmcnt(20)
	v_add_f64 v[108:109], v[16:17], v[12:13]
	v_add_f64 v[100:101], v[0:1], v[4:5]
	v_add_f64 v[114:115], v[12:13], -v[0:1]
	v_add_f64 v[116:117], v[0:1], -v[12:13]
	;; [unrolled: 1-line block ×3, first 2 shown]
	v_add_f64 v[110:111], v[18:19], v[14:15]
	v_add_f64 v[104:105], v[2:3], v[6:7]
	v_add_f64 v[120:121], v[14:15], -v[2:3]
	v_add_f64 v[122:123], v[2:3], -v[14:15]
	;; [unrolled: 1-line block ×3, first 2 shown]
	v_add_f64 v[102:103], v[12:13], v[8:9]
	v_add_f64 v[118:119], v[12:13], -v[8:9]
	s_waitcnt lgkmcnt(13)
	v_add_f64 v[12:13], v[44:45], v[40:41]
	v_add_f64 v[106:107], v[14:15], v[10:11]
	v_add_f64 v[112:113], v[14:15], -v[10:11]
	v_add_f64 v[14:15], v[46:47], v[42:43]
	s_waitcnt lgkmcnt(10)
	v_add_f64 v[146:147], v[40:41], -v[56:57]
	v_add_f64 v[148:149], v[56:57], -v[40:41]
	s_waitcnt lgkmcnt(8)
	v_add_f64 v[150:151], v[58:59], v[66:67]
	s_waitcnt lgkmcnt(6)
	v_add_f64 v[160:161], v[40:41], v[72:73]
	v_add_f64 v[162:163], v[40:41], -v[72:73]
	v_add_f64 v[40:41], v[42:43], v[74:75]
	v_add_f64 v[0:1], v[108:109], v[0:1]
	;; [unrolled: 1-line block ×4, first 2 shown]
	v_fma_f64 v[100:101], v[100:101], -0.5, v[16:17]
	v_add_f64 v[128:129], v[8:9], -v[4:5]
	v_add_f64 v[2:3], v[110:111], v[2:3]
	v_fma_f64 v[104:105], v[104:105], -0.5, v[18:19]
	v_add_f64 v[130:131], v[4:5], -v[8:9]
	v_add_f64 v[132:133], v[10:11], -v[6:7]
	;; [unrolled: 1-line block ×3, first 2 shown]
	v_fma_f64 v[102:103], v[102:103], -0.5, v[16:17]
	s_waitcnt lgkmcnt(3)
	v_add_f64 v[16:17], v[84:85], v[80:81]
	v_add_f64 v[12:13], v[12:13], v[56:57]
	v_fma_f64 v[106:107], v[106:107], -0.5, v[18:19]
	v_add_f64 v[18:19], v[86:87], v[82:83]
	v_add_f64 v[180:181], v[20:21], v[32:33]
	v_add_f64 v[183:184], v[22:23], v[34:35]
	v_add_f64 v[108:109], v[20:21], -v[24:25]
	v_add_f64 v[110:111], v[24:25], -v[20:21]
	v_add_f64 v[14:15], v[14:15], v[58:59]
	v_fma_f64 v[150:151], v[150:151], -0.5, v[46:47]
	v_fma_f64 v[185:186], v[40:41], -0.5, v[46:47]
	v_add_f64 v[0:1], v[0:1], v[4:5]
	s_waitcnt lgkmcnt(0)
	v_add_f64 v[40:41], v[80:81], v[96:97]
	v_add_f64 v[4:5], v[62:63], v[70:71]
	;; [unrolled: 1-line block ×6, first 2 shown]
	v_add_f64 v[189:190], v[22:23], -v[26:27]
	v_add_f64 v[191:192], v[26:27], -v[22:23]
	;; [unrolled: 1-line block ×4, first 2 shown]
	v_add_f64 v[16:17], v[16:17], v[88:89]
	v_add_f64 v[12:13], v[12:13], v[64:65]
	;; [unrolled: 1-line block ×7, first 2 shown]
	v_add_f64 v[176:177], v[26:27], -v[30:31]
	v_add_f64 v[14:15], v[14:15], v[66:67]
	v_add_f64 v[187:188], v[24:25], -v[28:29]
	v_add_f64 v[142:143], v[56:57], v[64:65]
	v_add_f64 v[0:1], v[0:1], v[8:9]
	buffer_store_dword v0, off, s[28:31], 0 ; 4-byte Folded Spill
	buffer_store_dword v1, off, s[28:31], 0 offset:4 ; 4-byte Folded Spill
	v_add_f64 v[0:1], v[2:3], v[10:11]
	buffer_store_dword v0, off, s[28:31], 0 offset:8 ; 4-byte Folded Spill
	buffer_store_dword v1, off, s[28:31], 0 offset:12 ; 4-byte Folded Spill
	v_add_f64 v[0:1], v[12:13], v[72:73]
	v_fma_f64 v[199:200], v[40:41], -0.5, v[84:85]
	v_add_f64 v[40:41], v[32:33], -v[28:29]
	v_fma_f64 v[209:210], v[4:5], -0.5, v[50:51]
	v_fma_f64 v[211:212], v[6:7], -0.5, v[50:51]
	v_add_f64 v[24:25], v[46:47], v[28:29]
	v_add_f64 v[26:27], v[170:171], v[30:31]
	v_add_f64 v[50:51], v[28:29], -v[32:33]
	v_add_f64 v[16:17], v[16:17], v[92:93]
	v_add_f64 v[18:19], v[18:19], v[94:95]
	v_add_f64 v[28:29], v[20:21], v[60:61]
	v_add_f64 v[22:23], v[22:23], v[62:63]
	v_add_f64 v[152:153], v[56:57], -v[64:65]
	v_add_f64 v[56:57], v[88:89], v[92:93]
	v_fma_f64 v[178:179], v[178:179], -0.5, v[38:39]
	v_fma_f64 v[183:184], v[183:184], -0.5, v[38:39]
	v_add_f64 v[38:39], v[52:53], v[76:77]
	buffer_store_dword v0, off, s[28:31], 0 offset:16 ; 4-byte Folded Spill
	buffer_store_dword v1, off, s[28:31], 0 offset:20 ; 4-byte Folded Spill
	v_add_f64 v[6:7], v[14:15], v[74:75]
	v_fma_f64 v[174:175], v[174:175], -0.5, v[36:37]
	v_fma_f64 v[180:181], v[180:181], -0.5, v[36:37]
	v_add_f64 v[36:37], v[60:61], v[68:69]
	v_add_f64 v[8:9], v[24:25], v[32:33]
	;; [unrolled: 1-line block ×3, first 2 shown]
	v_fma_f64 v[142:143], v[142:143], -0.5, v[44:45]
	v_add_f64 v[12:13], v[16:17], v[96:97]
	v_add_f64 v[14:15], v[18:19], v[98:99]
	;; [unrolled: 1-line block ×4, first 2 shown]
	ds_read_b128 v[22:25], v182 offset:32640
	ds_read_b128 v[26:29], v182 offset:44160
	v_fma_f64 v[197:198], v[56:57], -0.5, v[84:85]
	v_add_f64 v[56:57], v[30:31], -v[34:35]
	v_fma_f64 v[160:161], v[160:161], -0.5, v[44:45]
	v_fma_f64 v[207:208], v[38:39], -0.5, v[48:49]
	v_add_f64 v[38:39], v[34:35], -v[30:31]
	ds_read_b128 v[30:33], v182 offset:9600
	v_add_f64 v[44:45], v[82:83], v[98:99]
	v_add_f64 v[154:155], v[42:43], -v[58:59]
	v_add_f64 v[156:157], v[58:59], -v[42:43]
	;; [unrolled: 1-line block ×7, first 2 shown]
	v_fma_f64 v[205:206], v[36:37], -0.5, v[48:49]
	v_add_f64 v[144:145], v[58:59], -v[66:67]
	v_add_f64 v[58:59], v[90:91], v[94:95]
	v_add_f64 v[170:171], v[62:63], -v[70:71]
	v_add_f64 v[223:224], v[54:55], -v[78:79]
	s_waitcnt lgkmcnt(1)
	v_add_f64 v[34:35], v[22:23], v[26:27]
	v_add_f64 v[231:232], v[78:79], -v[70:71]
	v_add_f64 v[233:234], v[70:71], -v[78:79]
	v_add_f64 v[18:19], v[18:19], v[78:79]
	v_add_f64 v[70:71], v[22:23], -v[26:27]
	v_add_f64 v[213:214], v[90:91], -v[94:95]
	;; [unrolled: 1-line block ×5, first 2 shown]
	v_fma_f64 v[203:204], v[44:45], -0.5, v[86:87]
	v_add_f64 v[219:220], v[80:81], -v[96:97]
	v_add_f64 v[225:226], v[52:53], -v[76:77]
	v_add_f64 v[227:228], v[76:77], -v[68:69]
	v_add_f64 v[229:230], v[68:69], -v[76:77]
	v_add_f64 v[16:17], v[16:17], v[76:77]
	v_add_f64 v[20:21], v[60:61], -v[68:69]
	v_add_f64 v[221:222], v[62:63], -v[54:55]
	;; [unrolled: 1-line block ×3, first 2 shown]
	v_add_f64 v[50:51], v[110:111], v[50:51]
	v_fma_f64 v[201:202], v[58:59], -0.5, v[86:87]
	v_add_f64 v[86:87], v[88:89], -v[80:81]
	v_add_f64 v[88:89], v[82:83], -v[90:91]
	s_waitcnt lgkmcnt(0)
	v_fma_f64 v[235:236], v[34:35], -0.5, v[30:31]
	ds_read_b128 v[34:37], v182 offset:21120
	ds_read_b128 v[72:75], v182 offset:55680
	v_add_f64 v[90:91], v[90:91], -v[82:83]
	v_add_f64 v[80:81], v[96:97], -v[92:93]
	;; [unrolled: 1-line block ×6, first 2 shown]
	v_add_f64 v[58:59], v[146:147], v[42:43]
	v_add_f64 v[96:97], v[52:53], -v[60:61]
	v_add_f64 v[60:61], v[54:55], -v[62:63]
	v_add_f64 v[52:53], v[191:192], v[56:57]
	v_add_f64 v[62:63], v[116:117], v[130:131]
	v_fma_f64 v[130:131], v[215:216], s[6:7], v[203:204]
	v_add_f64 v[64:65], v[122:123], v[134:135]
	v_fma_f64 v[122:123], v[193:194], s[6:7], v[174:175]
	v_fma_f64 v[146:147], v[170:171], s[4:5], v[207:208]
	v_add_f64 v[46:47], v[120:121], v[132:133]
	v_fma_f64 v[132:133], v[195:196], s[4:5], v[178:179]
	v_add_f64 v[66:67], v[148:149], v[164:165]
	s_waitcnt lgkmcnt(1)
	v_add_f64 v[243:244], v[36:37], -v[24:25]
	s_waitcnt lgkmcnt(0)
	v_add_f64 v[44:45], v[34:35], v[72:73]
	v_add_f64 v[0:1], v[74:75], -v[28:29]
	v_add_f64 v[78:79], v[22:23], -v[34:35]
	;; [unrolled: 1-line block ×7, first 2 shown]
	v_add_f64 v[54:55], v[86:87], v[82:83]
	v_add_f64 v[56:57], v[90:91], v[94:95]
	v_fma_f64 v[86:87], v[144:145], s[6:7], v[160:161]
	v_add_f64 v[249:250], v[34:35], -v[72:73]
	v_fma_f64 v[90:91], v[144:145], s[4:5], v[160:161]
	v_add_f64 v[68:69], v[156:157], v[168:169]
	v_add_f64 v[48:49], v[154:155], v[166:167]
	s_waitcnt_vscnt null, 0x0
	v_fma_f64 v[122:123], v[176:177], s[14:15], v[122:123]
	s_barrier
	buffer_gl0_inv
	v_fma_f64 v[120:121], v[213:214], s[4:5], v[199:200]
	v_fma_f64 v[134:135], v[217:218], s[6:7], v[197:198]
	;; [unrolled: 1-line block ×3, first 2 shown]
	v_fma_f64 v[237:238], v[44:45], -0.5, v[30:31]
	v_add_f64 v[44:45], v[24:25], v[28:29]
	v_add_f64 v[30:31], v[30:31], v[34:35]
	;; [unrolled: 1-line block ×3, first 2 shown]
	v_fma_f64 v[92:93], v[112:113], s[6:7], v[100:101]
	v_add_f64 v[42:43], v[78:79], v[2:3]
	v_fma_f64 v[2:3], v[126:127], s[4:5], v[106:107]
	v_fma_f64 v[164:165], v[225:226], s[4:5], v[209:210]
	;; [unrolled: 1-line block ×5, first 2 shown]
	v_fma_f64 v[239:240], v[44:45], -0.5, v[32:33]
	v_add_f64 v[44:45], v[36:37], v[74:75]
	v_add_f64 v[30:31], v[30:31], v[22:23]
	;; [unrolled: 1-line block ×3, first 2 shown]
	v_fma_f64 v[96:97], v[118:119], s[6:7], v[104:105]
	v_fma_f64 v[82:83], v[118:119], s[14:15], v[2:3]
	;; [unrolled: 1-line block ×6, first 2 shown]
	v_fma_f64 v[241:242], v[44:45], -0.5, v[32:33]
	v_add_f64 v[32:33], v[32:33], v[36:37]
	v_add_f64 v[251:252], v[30:31], v[26:27]
	v_add_f64 v[36:37], v[72:73], -v[26:27]
	v_add_f64 v[26:27], v[243:244], v[0:1]
	v_fma_f64 v[0:1], v[124:125], s[6:7], v[102:103]
	v_fma_f64 v[110:111], v[144:145], s[8:9], v[2:3]
	;; [unrolled: 1-line block ×3, first 2 shown]
	v_add_f64 v[44:45], v[114:115], v[128:129]
	v_fma_f64 v[114:115], v[187:188], s[6:7], v[183:184]
	v_fma_f64 v[128:129], v[195:196], s[6:7], v[178:179]
	v_add_f64 v[30:31], v[108:109], v[40:41]
	v_fma_f64 v[108:109], v[176:177], s[4:5], v[180:181]
	v_fma_f64 v[178:179], v[247:248], s[4:5], v[235:236]
	;; [unrolled: 1-line block ×3, first 2 shown]
	v_add_f64 v[40:41], v[221:222], v[233:234]
	v_fma_f64 v[82:83], v[64:65], s[16:17], v[82:83]
	v_fma_f64 v[168:169], v[70:71], s[14:15], v[168:169]
	;; [unrolled: 1-line block ×3, first 2 shown]
	v_add_f64 v[32:33], v[32:33], v[24:25]
	v_add_f64 v[24:25], v[60:61], v[231:232]
	;; [unrolled: 1-line block ×3, first 2 shown]
	v_fma_f64 v[4:5], v[112:113], s[4:5], v[100:101]
	v_fma_f64 v[100:101], v[118:119], s[4:5], v[104:105]
	;; [unrolled: 1-line block ×5, first 2 shown]
	v_add_f64 v[253:254], v[32:33], v[28:29]
	v_add_f64 v[28:29], v[76:77], v[36:37]
	;; [unrolled: 1-line block ×3, first 2 shown]
	v_fma_f64 v[98:99], v[152:153], s[6:7], v[185:186]
	v_add_f64 v[32:33], v[189:190], v[38:39]
	v_add_f64 v[38:39], v[84:85], v[80:81]
	v_fma_f64 v[80:81], v[124:125], s[4:5], v[102:103]
	v_fma_f64 v[84:85], v[126:127], s[6:7], v[106:107]
	;; [unrolled: 1-line block ×4, first 2 shown]
	v_add_f64 v[76:77], v[251:252], v[72:73]
	v_fma_f64 v[100:101], v[126:127], s[8:9], v[100:101]
	v_fma_f64 v[142:143], v[219:220], s[6:7], v[201:202]
	v_add_f64 v[78:79], v[253:254], v[74:75]
	v_fma_f64 v[74:75], v[112:113], s[8:9], v[0:1]
	v_fma_f64 v[0:1], v[152:153], s[4:5], v[185:186]
	;; [unrolled: 1-line block ×47, first 2 shown]
	v_mov_b32_e32 v172, 9
	v_fma_f64 v[173:174], v[170:171], s[8:9], v[174:175]
	v_fma_f64 v[134:135], v[225:226], s[8:9], v[134:135]
	;; [unrolled: 1-line block ×22, first 2 shown]
	v_and_b32_e32 v0, 0xff, v136
	v_mul_lo_u16 v0, 0xcd, v0
	v_lshrrev_b16 v183, 11, v0
	v_mul_lo_u16 v0, v183, 10
	v_sub_nc_u16 v178, v136, v0
	v_mul_u32_u24_e32 v0, 10, v136
	v_mul_u32_u24_sdwa v1, v178, v172 dst_sel:DWORD dst_unused:UNUSED_PAD src0_sel:BYTE_0 src1_sel:DWORD
	v_lshl_add_u32 v137, v0, 4, 0
	v_lshlrev_b32_e32 v177, 4, v1
	s_clause 0x5
	buffer_load_dword v0, off, s[28:31], 0
	buffer_load_dword v1, off, s[28:31], 0 offset:4
	buffer_load_dword v4, off, s[28:31], 0 offset:16
	;; [unrolled: 1-line block ×5, first 2 shown]
	s_waitcnt vmcnt(2)
	v_add_f64 v[162:163], v[0:1], v[4:5]
	s_waitcnt vmcnt(0)
	v_add_f64 v[164:165], v[2:3], v[6:7]
	v_add_f64 v[0:1], v[0:1], -v[4:5]
	v_add_f64 v[4:5], v[8:9], v[12:13]
	v_add_f64 v[8:9], v[8:9], -v[12:13]
	;; [unrolled: 2-line block ×3, first 2 shown]
	v_fma_f64 v[76:77], v[58:59], s[16:17], v[110:111]
	v_add_f64 v[2:3], v[2:3], -v[6:7]
	v_add_f64 v[6:7], v[10:11], v[14:15]
	v_add_f64 v[10:11], v[10:11], -v[14:15]
	v_add_f64 v[14:15], v[18:19], v[78:79]
	v_add_f64 v[18:19], v[18:19], -v[78:79]
	v_fma_f64 v[78:79], v[48:49], s[16:17], v[126:127]
	v_fma_f64 v[58:59], v[58:59], s[16:17], v[90:91]
	;; [unrolled: 1-line block ×26, first 2 shown]
	ds_write_b128 v137, v[162:165]
	ds_write_b128 v137, v[0:3] offset:80
	ds_write_b128 v137, v[4:7] offset:19200
	ds_write_b128 v137, v[8:11] offset:19280
	ds_write_b128 v137, v[12:15] offset:38400
	ds_write_b128 v137, v[16:19] offset:38480
	v_mul_f64 v[0:1], v[76:77], s[18:19]
	v_mul_f64 v[2:3], v[76:77], s[14:15]
	;; [unrolled: 1-line block ×10, first 2 shown]
	v_fma_f64 v[114:115], v[24:25], s[16:17], v[175:176]
	v_fma_f64 v[124:125], v[22:23], s[16:17], v[170:171]
	v_mul_f64 v[22:23], v[90:91], s[4:5]
	v_mul_f64 v[24:25], v[92:93], s[6:7]
	v_fma_f64 v[34:35], v[26:27], s[16:17], v[168:169]
	v_mul_f64 v[26:27], v[50:51], s[16:17]
	v_mul_f64 v[42:43], v[52:53], s[16:17]
	;; [unrolled: 1-line block ×12, first 2 shown]
	v_fma_f64 v[144:145], v[78:79], s[8:9], v[0:1]
	v_fma_f64 v[78:79], v[78:79], s[18:19], v[2:3]
	v_fma_f64 v[88:89], v[88:89], s[16:17], v[4:5]
	v_fma_f64 v[94:95], v[94:95], s[16:17], v[6:7]
	v_fma_f64 v[68:69], v[68:69], s[4:5], -v[8:9]
	v_fma_f64 v[66:67], v[66:67], s[6:7], -v[10:11]
	v_fma_f64 v[48:49], v[48:49], s[8:9], -v[12:13]
	v_fma_f64 v[58:59], v[58:59], s[14:15], -v[14:15]
	v_fma_f64 v[146:147], v[80:81], s[8:9], v[16:17]
	v_fma_f64 v[80:81], v[80:81], s[18:19], v[18:19]
	v_fma_f64 v[92:93], v[92:93], s[16:17], v[22:23]
	v_fma_f64 v[90:91], v[90:91], s[16:17], v[24:25]
	v_fma_f64 v[52:53], v[52:53], s[4:5], -v[26:27]
	v_fma_f64 v[148:149], v[50:51], s[6:7], -v[42:43]
	v_fma_f64 v[60:61], v[30:31], s[8:9], -v[60:61]
	v_fma_f64 v[70:71], v[38:39], s[14:15], -v[70:71]
	;; [unrolled: 8-line block ×3, first 2 shown]
	v_add_f64 v[0:1], v[110:111], v[144:145]
	v_add_f64 v[2:3], v[112:113], v[78:79]
	;; [unrolled: 1-line block ×8, first 2 shown]
	v_add_f64 v[4:5], v[110:111], -v[144:145]
	v_add_f64 v[6:7], v[112:113], -v[78:79]
	;; [unrolled: 1-line block ×8, first 2 shown]
	v_add_f64 v[32:33], v[84:85], v[146:147]
	v_add_f64 v[34:35], v[86:87], v[80:81]
	;; [unrolled: 1-line block ×8, first 2 shown]
	v_add_f64 v[36:37], v[84:85], -v[146:147]
	v_add_f64 v[38:39], v[86:87], -v[80:81]
	;; [unrolled: 1-line block ×8, first 2 shown]
	v_add_f64 v[64:65], v[108:109], v[72:73]
	v_add_f64 v[66:67], v[114:115], v[150:151]
	v_add_f64 v[68:69], v[108:109], -v[72:73]
	v_add_f64 v[72:73], v[116:117], v[76:77]
	v_add_f64 v[74:75], v[118:119], v[128:129]
	;; [unrolled: 1-line block ×6, first 2 shown]
	v_add_f64 v[70:71], v[114:115], -v[150:151]
	v_add_f64 v[76:77], v[116:117], -v[76:77]
	;; [unrolled: 1-line block ×7, first 2 shown]
	ds_write_b128 v137, v[0:3] offset:16
	ds_write_b128 v137, v[8:11] offset:32
	ds_write_b128 v137, v[16:19] offset:48
	ds_write_b128 v137, v[24:27] offset:64
	ds_write_b128 v137, v[4:7] offset:96
	ds_write_b128 v137, v[12:15] offset:112
	ds_write_b128 v137, v[20:23] offset:128
	ds_write_b128 v137, v[28:31] offset:144
	ds_write_b128 v137, v[32:35] offset:19216
	ds_write_b128 v137, v[40:43] offset:19232
	ds_write_b128 v137, v[48:51] offset:19248
	ds_write_b128 v137, v[56:59] offset:19264
	ds_write_b128 v137, v[36:39] offset:19296
	ds_write_b128 v137, v[44:47] offset:19312
	ds_write_b128 v137, v[52:55] offset:19328
	ds_write_b128 v137, v[60:63] offset:19344
	ds_write_b128 v137, v[64:67] offset:38416
	ds_write_b128 v137, v[72:75] offset:38432
	ds_write_b128 v137, v[80:83] offset:38448
	ds_write_b128 v137, v[88:91] offset:38464
	ds_write_b128 v137, v[68:71] offset:38496
	ds_write_b128 v137, v[76:79] offset:38512
	ds_write_b128 v137, v[84:87] offset:38528
	ds_write_b128 v137, v[92:95] offset:38544
	s_waitcnt lgkmcnt(0)
	s_barrier
	buffer_gl0_inv
	s_clause 0x1
	global_load_dwordx4 v[0:3], v177, s[12:13]
	global_load_dwordx4 v[40:43], v177, s[12:13] offset:16
	v_add_nc_u16 v137, v136, 0x78
	s_clause 0x3
	global_load_dwordx4 v[28:31], v177, s[12:13] offset:64
	global_load_dwordx4 v[24:27], v177, s[12:13] offset:80
	;; [unrolled: 1-line block ×4, first 2 shown]
	v_and_b32_e32 v179, 0xff, v137
	s_clause 0x1
	global_load_dwordx4 v[20:23], v177, s[12:13] offset:96
	global_load_dwordx4 v[16:19], v177, s[12:13] offset:112
	v_add_nc_u32_e32 v176, 0xf0, v136
	v_mov_b32_e32 v45, 0xcccd
	v_mul_lo_u16 v4, 0xcd, v179
	v_mul_u32_u24_sdwa v45, v176, v45 dst_sel:DWORD dst_unused:UNUSED_PAD src0_sel:WORD_0 src1_sel:DWORD
	v_lshrrev_b16 v181, 11, v4
	v_lshrrev_b32_e32 v184, 19, v45
	v_mul_lo_u16 v4, v181, 10
	v_mul_lo_u16 v45, v184, 10
	v_sub_nc_u16 v180, v137, v4
	v_sub_nc_u16 v185, v176, v45
	v_mul_u32_u24_sdwa v4, v180, v172 dst_sel:DWORD dst_unused:UNUSED_PAD src0_sel:BYTE_0 src1_sel:DWORD
	v_mul_u32_u24_sdwa v45, v185, v172 dst_sel:DWORD dst_unused:UNUSED_PAD src0_sel:WORD_0 src1_sel:DWORD
	v_lshlrev_b32_e32 v44, 4, v4
	s_clause 0x8
	global_load_dwordx4 v[12:15], v177, s[12:13] offset:128
	global_load_dwordx4 v[8:11], v44, s[12:13]
	global_load_dwordx4 v[4:7], v44, s[12:13] offset:16
	global_load_dwordx4 v[104:107], v44, s[12:13] offset:32
	;; [unrolled: 1-line block ×7, first 2 shown]
	v_lshlrev_b32_e32 v100, 4, v45
	s_clause 0x9
	global_load_dwordx4 v[44:47], v44, s[12:13] offset:128
	global_load_dwordx4 v[52:55], v100, s[12:13]
	global_load_dwordx4 v[76:79], v100, s[12:13] offset:16
	global_load_dwordx4 v[80:83], v100, s[12:13] offset:32
	;; [unrolled: 1-line block ×8, first 2 shown]
	ds_read_b128 v[132:135], v182 offset:5760
	ds_read_b128 v[128:131], v182 offset:11520
	;; [unrolled: 1-line block ×10, first 2 shown]
	v_add_nc_u32_e32 v172, 0xffffff9c, v136
	v_cndmask_b32_e64 v177, v172, v136, s0
	s_waitcnt vmcnt(26) lgkmcnt(9)
	v_mul_f64 v[144:145], v[134:135], v[2:3]
	v_mul_f64 v[146:147], v[132:133], v[2:3]
	s_waitcnt vmcnt(25) lgkmcnt(8)
	v_mul_f64 v[142:143], v[130:131], v[42:43]
	v_mul_f64 v[42:43], v[128:129], v[42:43]
	;; [unrolled: 3-line block ×3, first 2 shown]
	s_waitcnt vmcnt(22)
	v_mul_f64 v[2:3], v[126:127], v[38:39]
	s_waitcnt vmcnt(21)
	v_mul_f64 v[160:161], v[122:123], v[34:35]
	s_waitcnt lgkmcnt(4)
	v_mul_f64 v[166:167], v[114:115], v[26:27]
	v_mul_f64 v[168:169], v[112:113], v[26:27]
	v_mul_f64 v[38:39], v[124:125], v[38:39]
	v_mul_f64 v[34:35], v[120:121], v[34:35]
	s_waitcnt vmcnt(20) lgkmcnt(3)
	v_mul_f64 v[170:171], v[108:109], v[22:23]
	v_fma_f64 v[144:145], v[132:133], v[0:1], -v[144:145]
	v_fma_f64 v[146:147], v[134:135], v[0:1], v[146:147]
	ds_read_b128 v[132:135], v182 offset:7680
	v_fma_f64 v[128:129], v[128:129], v[40:41], -v[142:143]
	v_fma_f64 v[130:131], v[130:131], v[40:41], v[42:43]
	ds_read_b128 v[40:43], v182 offset:15360
	v_mul_f64 v[142:143], v[110:111], v[22:23]
	v_fma_f64 v[116:117], v[116:117], v[28:29], -v[162:163]
	v_fma_f64 v[118:119], v[118:119], v[28:29], v[164:165]
	v_fma_f64 v[124:125], v[124:125], v[36:37], -v[2:3]
	ds_read_b128 v[0:3], v182 offset:19200
	v_fma_f64 v[120:121], v[120:121], v[32:33], -v[160:161]
	v_fma_f64 v[112:113], v[112:113], v[24:25], -v[166:167]
	v_fma_f64 v[114:115], v[114:115], v[24:25], v[168:169]
	ds_read_b128 v[26:29], v182 offset:30720
	v_fma_f64 v[38:39], v[126:127], v[36:37], v[38:39]
	s_waitcnt vmcnt(19) lgkmcnt(6)
	v_mul_f64 v[36:37], v[150:151], v[18:19]
	s_waitcnt vmcnt(18) lgkmcnt(4)
	v_mul_f64 v[160:161], v[156:157], v[14:15]
	v_mul_f64 v[126:127], v[148:149], v[18:19]
	s_waitcnt vmcnt(16)
	v_mul_f64 v[166:167], v[154:155], v[6:7]
	v_mul_f64 v[168:169], v[152:153], v[6:7]
	v_fma_f64 v[122:123], v[122:123], v[32:33], v[34:35]
	s_waitcnt lgkmcnt(3)
	v_mul_f64 v[162:163], v[134:135], v[10:11]
	v_mul_f64 v[164:165], v[132:133], v[10:11]
	;; [unrolled: 1-line block ×3, first 2 shown]
	ds_read_b128 v[22:25], v182 offset:36480
	v_fma_f64 v[110:111], v[110:111], v[20:21], v[170:171]
	ds_read_b128 v[30:33], v182 offset:24960
	v_fma_f64 v[108:109], v[108:109], v[20:21], -v[142:143]
	ds_read_b128 v[18:21], v182 offset:42240
	v_fma_f64 v[148:149], v[148:149], v[16:17], -v[36:37]
	v_fma_f64 v[158:159], v[158:159], v[12:13], v[160:161]
	v_fma_f64 v[126:127], v[150:151], v[16:17], v[126:127]
	ds_read_b128 v[14:17], v182 offset:48000
	v_fma_f64 v[152:153], v[152:153], v[4:5], -v[166:167]
	v_fma_f64 v[154:155], v[154:155], v[4:5], v[168:169]
	v_fma_f64 v[132:133], v[132:133], v[8:9], -v[162:163]
	v_fma_f64 v[134:135], v[134:135], v[8:9], v[164:165]
	ds_read_b128 v[6:9], v182 offset:9600
	s_waitcnt vmcnt(15) lgkmcnt(6)
	v_mul_f64 v[142:143], v[2:3], v[106:107]
	v_mul_f64 v[106:107], v[0:1], v[106:107]
	v_fma_f64 v[156:157], v[156:157], v[12:13], -v[34:35]
	ds_read_b128 v[34:37], v182 offset:21120
	s_waitcnt vmcnt(11) lgkmcnt(3)
	v_mul_f64 v[4:5], v[20:21], v[62:63]
	v_mul_f64 v[62:63], v[18:19], v[62:63]
	;; [unrolled: 1-line block ×4, first 2 shown]
	ds_read_b128 v[10:13], v182 offset:53760
	v_add_f64 v[190:191], v[122:123], -v[114:115]
	s_waitcnt vmcnt(10) lgkmcnt(3)
	v_mul_f64 v[164:165], v[16:17], v[50:51]
	v_mul_f64 v[50:51], v[14:15], v[50:51]
	v_fma_f64 v[142:143], v[0:1], v[104:105], -v[142:143]
	v_fma_f64 v[106:107], v[2:3], v[104:105], v[106:107]
	ds_read_b128 v[0:3], v182 offset:26880
	v_mul_f64 v[160:161], v[28:29], v[70:71]
	v_mul_f64 v[70:71], v[26:27], v[70:71]
	s_waitcnt vmcnt(6) lgkmcnt(2)
	v_mul_f64 v[166:167], v[36:37], v[82:83]
	v_fma_f64 v[168:169], v[18:19], v[60:61], -v[4:5]
	v_fma_f64 v[60:61], v[20:21], v[60:61], v[62:63]
	ds_read_b128 v[18:21], v182
	v_mul_f64 v[4:5], v[34:35], v[82:83]
	v_fma_f64 v[150:151], v[30:31], v[56:57], -v[150:151]
	v_fma_f64 v[56:57], v[32:33], v[56:57], v[58:59]
	s_waitcnt lgkmcnt(2)
	v_mul_f64 v[58:59], v[12:13], v[46:47]
	v_mul_f64 v[46:47], v[10:11], v[46:47]
	v_fma_f64 v[82:83], v[14:15], v[48:49], -v[164:165]
	v_fma_f64 v[164:165], v[16:17], v[48:49], v[50:51]
	v_mov_b32_e32 v105, 0
	v_mul_i32_i24_e32 v104, 5, v177
	s_waitcnt vmcnt(5) lgkmcnt(1)
	v_mul_f64 v[48:49], v[2:3], v[74:75]
	v_fma_f64 v[160:161], v[26:27], v[68:69], -v[160:161]
	v_fma_f64 v[68:69], v[28:29], v[68:69], v[70:71]
	ds_read_b128 v[26:29], v182 offset:38400
	v_mul_f64 v[162:163], v[24:25], v[66:67]
	v_mul_f64 v[66:67], v[22:23], v[66:67]
	;; [unrolled: 1-line block ×4, first 2 shown]
	v_fma_f64 v[166:167], v[34:35], v[80:81], -v[166:167]
	s_waitcnt lgkmcnt(1)
	v_add_f64 v[34:35], v[20:21], v[130:131]
	v_fma_f64 v[172:173], v[36:37], v[80:81], v[4:5]
	v_add_f64 v[36:37], v[144:145], v[124:125]
	v_fma_f64 v[58:59], v[10:11], v[44:45], -v[58:59]
	v_mul_f64 v[10:11], v[0:1], v[74:75]
	v_add_f64 v[4:5], v[18:19], v[128:129]
	v_fma_f64 v[170:171], v[12:13], v[44:45], v[46:47]
	v_lshlrev_b64 v[12:13], 4, v[104:105]
	v_mov_b32_e32 v104, 0x640
	v_mul_u32_u24_sdwa v183, v183, v104 dst_sel:DWORD dst_unused:UNUSED_PAD src0_sel:WORD_0 src1_sel:DWORD
	v_add_co_u32 v12, s0, s12, v12
	v_add_co_ci_u32_e64 v13, s0, s13, v13, s0
	v_fma_f64 v[162:163], v[22:23], v[64:65], -v[162:163]
	v_fma_f64 v[64:65], v[24:25], v[64:65], v[66:67]
	ds_read_b128 v[22:25], v182 offset:32640
	v_fma_f64 v[62:63], v[6:7], v[52:53], -v[70:71]
	v_mul_f64 v[66:67], v[42:43], v[78:79]
	v_mul_f64 v[78:79], v[40:41], v[78:79]
	ds_read_b128 v[14:17], v182 offset:49920
	ds_read_b128 v[30:33], v182 offset:44160
	;; [unrolled: 1-line block ×3, first 2 shown]
	v_fma_f64 v[70:71], v[8:9], v[52:53], v[54:55]
	s_waitcnt vmcnt(3) lgkmcnt(4)
	v_mul_f64 v[52:53], v[28:29], v[90:91]
	v_mul_f64 v[54:55], v[26:27], v[90:91]
	v_add_f64 v[4:5], v[4:5], v[120:121]
	v_cmp_lt_u32_e64 s0, 0x63, v136
	s_waitcnt lgkmcnt(3)
	v_mul_f64 v[6:7], v[24:25], v[86:87]
	v_mul_f64 v[50:51], v[22:23], v[86:87]
	s_waitcnt vmcnt(1) lgkmcnt(2)
	v_mul_f64 v[74:75], v[16:17], v[98:99]
	v_fma_f64 v[86:87], v[40:41], v[76:77], -v[66:67]
	v_fma_f64 v[90:91], v[42:43], v[76:77], v[78:79]
	v_add_f64 v[40:41], v[146:147], v[38:39]
	s_waitcnt lgkmcnt(1)
	v_mul_f64 v[42:43], v[32:33], v[94:95]
	v_mul_f64 v[66:67], v[30:31], v[94:95]
	;; [unrolled: 1-line block ×3, first 2 shown]
	v_fma_f64 v[78:79], v[0:1], v[72:73], -v[48:49]
	v_fma_f64 v[72:73], v[2:3], v[72:73], v[10:11]
	ds_read_b128 v[8:11], v182 offset:1920
	s_waitcnt vmcnt(0) lgkmcnt(1)
	v_mul_f64 v[0:1], v[46:47], v[102:103]
	v_mul_f64 v[2:3], v[44:45], v[102:103]
	v_fma_f64 v[94:95], v[26:27], v[88:89], -v[52:53]
	v_fma_f64 v[88:89], v[28:29], v[88:89], v[54:55]
	v_add_f64 v[26:27], v[128:129], -v[120:121]
	v_add_f64 v[28:29], v[148:149], -v[112:113]
	v_add_f64 v[4:5], v[4:5], v[112:113]
	v_add_f64 v[48:49], v[122:123], -v[130:131]
	v_add_f64 v[52:53], v[112:113], -v[148:149]
	v_fma_f64 v[80:81], v[22:23], v[84:85], -v[6:7]
	v_add_f64 v[6:7], v[34:35], v[122:123]
	v_add_f64 v[22:23], v[36:37], v[116:117]
	v_fma_f64 v[102:103], v[14:15], v[96:97], -v[74:75]
	v_add_f64 v[14:15], v[122:123], v[114:115]
	v_fma_f64 v[84:85], v[24:25], v[84:85], v[50:51]
	v_add_f64 v[24:25], v[40:41], v[118:119]
	v_fma_f64 v[98:99], v[30:31], v[92:93], -v[42:43]
	v_fma_f64 v[66:67], v[32:33], v[92:93], v[66:67]
	v_fma_f64 v[174:175], v[16:17], v[96:97], v[76:77]
	v_add_f64 v[16:17], v[130:131], v[126:127]
	v_add_f64 v[30:31], v[130:131], -v[122:123]
	v_add_f64 v[32:33], v[126:127], -v[114:115]
	v_fma_f64 v[186:187], v[44:45], v[100:101], -v[0:1]
	v_fma_f64 v[188:189], v[46:47], v[100:101], v[2:3]
	v_add_f64 v[0:1], v[120:121], v[112:113]
	v_add_f64 v[2:3], v[128:129], v[148:149]
	v_add_f64 v[34:35], v[124:125], -v[116:117]
	v_add_f64 v[40:41], v[38:39], -v[118:119]
	v_add_f64 v[44:45], v[116:117], v[108:109]
	v_add_f64 v[46:47], v[118:119], v[110:111]
	v_add_f64 v[74:75], v[124:125], -v[156:157]
	v_add_f64 v[76:77], v[116:117], -v[108:109]
	;; [unrolled: 4-line block ×3, first 2 shown]
	v_add_f64 v[122:123], v[128:129], -v[148:149]
	v_add_f64 v[50:51], v[120:121], -v[128:129]
	;; [unrolled: 1-line block ×5, first 2 shown]
	v_add_f64 v[114:115], v[124:125], v[156:157]
	v_add_f64 v[116:117], v[118:119], -v[38:39]
	v_add_f64 v[118:119], v[150:151], v[162:163]
	v_add_f64 v[124:125], v[152:153], v[82:83]
	;; [unrolled: 1-line block ×3, first 2 shown]
	v_add_f64 v[36:37], v[156:157], -v[108:109]
	v_add_f64 v[108:109], v[108:109], -v[156:157]
	s_waitcnt lgkmcnt(0)
	v_add_f64 v[192:193], v[8:9], v[152:153]
	v_add_f64 v[194:195], v[10:11], v[154:155]
	;; [unrolled: 1-line block ×3, first 2 shown]
	v_add_f64 v[42:43], v[158:159], -v[110:111]
	v_add_f64 v[92:93], v[38:39], -v[158:159]
	v_add_f64 v[4:5], v[4:5], v[148:149]
	v_add_f64 v[6:7], v[6:7], v[126:127]
	v_add_f64 v[126:127], v[56:57], v[64:65]
	v_add_f64 v[22:23], v[22:23], v[156:157]
	v_fma_f64 v[156:157], v[14:15], -0.5, v[20:21]
	v_add_f64 v[14:15], v[78:79], v[94:95]
	v_add_f64 v[38:39], v[38:39], v[158:159]
	v_add_f64 v[110:111], v[110:111], -v[158:159]
	v_fma_f64 v[130:131], v[0:1], -0.5, v[18:19]
	v_fma_f64 v[148:149], v[2:3], -0.5, v[18:19]
	v_add_f64 v[18:19], v[142:143], -v[160:161]
	v_fma_f64 v[208:209], v[46:47], -0.5, v[146:147]
	v_fma_f64 v[118:119], v[118:119], -0.5, v[8:9]
	;; [unrolled: 1-line block ×4, first 2 shown]
	v_add_f64 v[210:211], v[50:51], v[52:53]
	v_fma_f64 v[212:213], v[44:45], -0.5, v[144:145]
	v_add_f64 v[44:45], v[188:189], -v[66:67]
	v_fma_f64 v[114:115], v[114:115], -0.5, v[144:145]
	v_add_f64 v[24:25], v[24:25], v[158:159]
	v_fma_f64 v[158:159], v[16:17], -0.5, v[20:21]
	v_add_f64 v[16:17], v[164:165], -v[64:65]
	v_add_f64 v[20:21], v[26:27], v[28:29]
	v_add_f64 v[28:29], v[34:35], v[36:37]
	v_fma_f64 v[126:127], v[126:127], -0.5, v[10:11]
	ds_read_b128 v[8:11], v182 offset:3840
	v_add_f64 v[0:1], v[4:5], v[22:23]
	v_add_f64 v[4:5], v[4:5], -v[22:23]
	v_fma_f64 v[146:147], v[38:39], -0.5, v[146:147]
	v_add_f64 v[22:23], v[30:31], v[32:33]
	v_add_f64 v[26:27], v[40:41], v[42:43]
	v_add_f64 v[30:31], v[106:107], -v[68:69]
	v_add_f64 v[50:51], v[116:117], v[110:111]
	v_add_f64 v[32:33], v[186:187], -v[98:99]
	v_add_f64 v[110:111], v[194:195], v[56:57]
	v_add_f64 v[40:41], v[48:49], v[54:55]
	v_add_f64 v[48:49], v[94:95], -v[102:103]
	v_add_f64 v[52:53], v[88:89], -v[174:175]
	;; [unrolled: 1-line block ×3, first 2 shown]
	v_add_f64 v[46:47], v[112:113], v[108:109]
	v_add_f64 v[108:109], v[66:67], -v[188:189]
	v_add_f64 v[2:3], v[6:7], v[24:25]
	v_add_f64 v[6:7], v[6:7], -v[24:25]
	v_add_f64 v[24:25], v[58:59], -v[168:169]
	;; [unrolled: 1-line block ×3, first 2 shown]
	s_waitcnt lgkmcnt(0)
	v_fma_f64 v[196:197], v[14:15], -0.5, v[8:9]
	v_add_f64 v[14:15], v[86:87], v[102:103]
	v_add_f64 v[204:205], v[8:9], v[86:87]
	;; [unrolled: 1-line block ×3, first 2 shown]
	v_add_f64 v[218:219], v[80:81], -v[98:99]
	v_add_f64 v[224:225], v[84:85], -v[66:67]
	v_fma_f64 v[112:113], v[74:75], s[6:7], v[208:209]
	s_barrier
	buffer_gl0_inv
	v_add_f64 v[110:111], v[110:111], v[64:65]
	v_add_f64 v[18:19], v[18:19], v[24:25]
	v_add_f64 v[24:25], v[162:163], -v[82:83]
	v_fma_f64 v[198:199], v[14:15], -0.5, v[8:9]
	v_add_f64 v[14:15], v[72:73], v[88:89]
	v_add_f64 v[8:9], v[152:153], -v[150:151]
	v_fma_f64 v[112:113], v[76:77], s[14:15], v[112:113]
	v_fma_f64 v[200:201], v[14:15], -0.5, v[10:11]
	v_add_f64 v[14:15], v[90:91], v[174:175]
	v_fma_f64 v[112:113], v[26:27], s[16:17], v[112:113]
	v_fma_f64 v[202:203], v[14:15], -0.5, v[10:11]
	v_add_f64 v[10:11], v[82:83], -v[162:163]
	v_add_f64 v[14:15], v[154:155], -v[56:57]
	v_add_f64 v[8:9], v[8:9], v[10:11]
	v_add_f64 v[10:11], v[14:15], v[16:17]
	v_add_f64 v[16:17], v[150:151], -v[152:153]
	v_add_f64 v[14:15], v[170:171], -v[60:61]
	v_add_f64 v[34:35], v[16:17], v[24:25]
	v_add_f64 v[16:17], v[56:57], -v[154:155]
	v_add_f64 v[24:25], v[64:65], -v[164:165]
	;; [unrolled: 3-line block ×3, first 2 shown]
	v_add_f64 v[64:65], v[160:161], v[168:169]
	v_add_f64 v[36:37], v[16:17], v[24:25]
	v_add_f64 v[16:17], v[160:161], -v[142:143]
	v_add_f64 v[24:25], v[168:169], -v[58:59]
	v_fma_f64 v[116:117], v[64:65], -0.5, v[132:133]
	v_add_f64 v[64:65], v[142:143], v[58:59]
	v_add_f64 v[38:39], v[16:17], v[24:25]
	v_add_f64 v[16:17], v[68:69], -v[106:107]
	v_add_f64 v[24:25], v[60:61], -v[170:171]
	v_fma_f64 v[144:145], v[64:65], -0.5, v[132:133]
	v_add_f64 v[64:65], v[132:133], v[142:143]
	v_add_f64 v[42:43], v[16:17], v[24:25]
	v_add_f64 v[16:17], v[86:87], -v[78:79]
	v_add_f64 v[24:25], v[102:103], -v[94:95]
	v_add_f64 v[64:65], v[64:65], v[160:161]
	v_add_f64 v[160:161], v[160:161], -v[168:169]
	v_add_f64 v[16:17], v[16:17], v[24:25]
	;; [unrolled: 2-line block ×3, first 2 shown]
	v_add_f64 v[64:65], v[68:69], v[60:61]
	v_add_f64 v[24:25], v[24:25], v[30:31]
	v_add_f64 v[30:31], v[166:167], -v[80:81]
	v_add_f64 v[30:31], v[30:31], v[32:33]
	v_add_f64 v[32:33], v[172:173], -v[84:85]
	;; [unrolled: 2-line block ×6, first 2 shown]
	v_add_f64 v[54:55], v[54:55], v[108:109]
	v_add_f64 v[108:109], v[192:193], v[150:151]
	v_add_f64 v[192:193], v[150:151], -v[162:163]
	v_fma_f64 v[150:151], v[64:65], -0.5, v[134:135]
	v_add_f64 v[64:65], v[106:107], v[170:171]
	v_add_f64 v[108:109], v[108:109], v[162:163]
	v_fma_f64 v[162:163], v[64:65], -0.5, v[134:135]
	v_add_f64 v[64:65], v[134:135], v[106:107]
	v_add_f64 v[134:135], v[68:69], -v[60:61]
	v_add_f64 v[64:65], v[64:65], v[68:69]
	v_fma_f64 v[68:69], v[96:97], s[4:5], v[114:115]
	v_add_f64 v[168:169], v[64:65], v[60:61]
	v_add_f64 v[60:61], v[204:205], v[78:79]
	v_fma_f64 v[64:65], v[96:97], s[6:7], v[114:115]
	v_add_f64 v[204:205], v[72:73], -v[88:89]
	v_fma_f64 v[78:79], v[100:101], s[6:7], v[130:131]
	v_fma_f64 v[114:115], v[74:75], s[4:5], v[208:209]
	v_add_f64 v[94:95], v[60:61], v[94:95]
	v_add_f64 v[60:61], v[206:207], v[72:73]
	v_fma_f64 v[72:73], v[100:101], s[4:5], v[130:131]
	v_add_f64 v[206:207], v[60:61], v[88:89]
	v_add_f64 v[60:61], v[80:81], v[98:99]
	v_fma_f64 v[88:89], v[122:123], s[4:5], v[156:157]
	v_fma_f64 v[214:215], v[60:61], -0.5, v[62:63]
	v_add_f64 v[60:61], v[166:167], v[186:187]
	v_fma_f64 v[216:217], v[60:61], -0.5, v[62:63]
	v_add_f64 v[60:61], v[62:63], v[166:167]
	v_fma_f64 v[62:63], v[190:191], s[4:5], v[148:149]
	v_add_f64 v[60:61], v[60:61], v[80:81]
	v_fma_f64 v[230:231], v[100:101], s[14:15], v[62:63]
	v_fma_f64 v[62:63], v[120:121], s[6:7], v[158:159]
	v_add_f64 v[98:99], v[60:61], v[98:99]
	v_add_f64 v[60:61], v[84:85], v[66:67]
	v_fma_f64 v[62:63], v[122:123], s[8:9], v[62:63]
	v_fma_f64 v[220:221], v[60:61], -0.5, v[70:71]
	v_add_f64 v[60:61], v[172:173], v[188:189]
	v_fma_f64 v[222:223], v[60:61], -0.5, v[70:71]
	v_add_f64 v[60:61], v[70:71], v[172:173]
	v_fma_f64 v[70:71], v[92:93], s[4:5], v[212:213]
	v_add_f64 v[60:61], v[60:61], v[84:85]
	v_fma_f64 v[84:85], v[122:123], s[6:7], v[156:157]
	v_add_f64 v[156:157], v[172:173], -v[188:189]
	v_add_f64 v[226:227], v[60:61], v[66:67]
	v_fma_f64 v[60:61], v[190:191], s[6:7], v[148:149]
	v_fma_f64 v[66:67], v[92:93], s[8:9], v[64:65]
	;; [unrolled: 1-line block ×8, first 2 shown]
	v_add_f64 v[146:147], v[86:87], -v[102:103]
	v_add_f64 v[86:87], v[94:95], v[102:103]
	v_fma_f64 v[94:95], v[56:57], s[6:7], v[124:125]
	v_add_f64 v[102:103], v[98:99], v[186:187]
	v_fma_f64 v[60:61], v[120:121], s[4:5], v[158:159]
	v_fma_f64 v[68:69], v[74:75], s[8:9], v[92:93]
	;; [unrolled: 1-line block ×7, first 2 shown]
	v_add_f64 v[114:115], v[152:153], -v[82:83]
	v_add_f64 v[76:77], v[108:109], v[82:83]
	v_add_f64 v[108:109], v[154:155], -v[164:165]
	v_add_f64 v[82:83], v[110:111], v[164:165]
	v_fma_f64 v[110:111], v[56:57], s[4:5], v[124:125]
	v_fma_f64 v[100:101], v[120:121], s[14:15], v[84:85]
	;; [unrolled: 1-line block ×3, first 2 shown]
	v_add_f64 v[120:121], v[142:143], -v[58:59]
	v_add_f64 v[84:85], v[132:133], v[58:59]
	v_add_f64 v[58:59], v[106:107], -v[170:171]
	v_fma_f64 v[60:61], v[122:123], s[14:15], v[60:61]
	v_add_f64 v[122:123], v[90:91], -v[174:175]
	v_add_f64 v[154:155], v[166:167], -v[186:187]
	v_add_f64 v[88:89], v[168:169], v[170:171]
	v_add_f64 v[90:91], v[206:207], v[174:175]
	v_fma_f64 v[174:175], v[146:147], s[4:5], v[200:201]
	v_fma_f64 v[170:171], v[156:157], s[6:7], v[214:215]
	;; [unrolled: 1-line block ×4, first 2 shown]
	v_add_f64 v[106:107], v[226:227], v[188:189]
	v_fma_f64 v[92:93], v[28:29], s[16:17], v[92:93]
	v_fma_f64 v[80:81], v[50:51], s[16:17], v[80:81]
	;; [unrolled: 1-line block ×23, first 2 shown]
	v_add_f64 v[20:21], v[76:77], v[84:85]
	v_add_f64 v[26:27], v[76:77], -v[84:85]
	v_fma_f64 v[100:101], v[22:23], s[16:17], v[100:101]
	v_add_f64 v[22:23], v[82:83], v[88:89]
	v_add_f64 v[28:29], v[82:83], -v[88:89]
	v_fma_f64 v[94:95], v[34:35], s[16:17], v[94:95]
	v_fma_f64 v[110:111], v[114:115], s[14:15], v[108:109]
	;; [unrolled: 1-line block ×50, first 2 shown]
	v_mul_u32_u24_sdwa v186, v181, v104 dst_sel:DWORD dst_unused:UNUSED_PAD src0_sel:WORD_0 src1_sel:DWORD
	v_mov_b32_e32 v104, 4
	v_fma_f64 v[122:123], v[48:49], s[16:17], v[134:135]
	v_mul_f64 v[134:135], v[74:75], s[18:19]
	v_lshlrev_b32_sdwa v178, v104, v178 dst_sel:DWORD dst_unused:UNUSED_PAD src0_sel:DWORD src1_sel:BYTE_0
	v_lshlrev_b32_sdwa v181, v104, v185 dst_sel:DWORD dst_unused:UNUSED_PAD src0_sel:DWORD src1_sel:WORD_0
	v_add3_u32 v183, 0, v183, v178
	v_mul_u32_u24_e32 v178, 0x640, v184
	v_fma_f64 v[184:185], v[46:47], s[16:17], v[66:67]
	v_fma_f64 v[166:167], v[154:155], s[14:15], v[56:57]
	;; [unrolled: 1-line block ×4, first 2 shown]
	v_add3_u32 v181, 0, v178, v181
	v_lshlrev_b32_sdwa v178, v104, v180 dst_sel:DWORD dst_unused:UNUSED_PAD src0_sel:DWORD src1_sel:BYTE_0
	v_add_f64 v[64:65], v[86:87], -v[102:103]
	v_add_f64 v[66:67], v[90:91], -v[106:107]
	v_fma_f64 v[44:45], v[52:53], s[16:17], v[146:147]
	ds_write_b128 v183, v[0:3]
	ds_write_b128 v183, v[4:7] offset:800
	v_add3_u32 v180, 0, v186, v178
	v_fma_f64 v[186:187], v[40:41], s[16:17], v[60:61]
	v_add_f64 v[60:61], v[86:87], v[102:103]
	v_fma_f64 v[86:87], v[42:43], s[16:17], v[132:133]
	v_fma_f64 v[40:41], v[40:41], s[16:17], v[62:63]
	v_add_f64 v[62:63], v[90:91], v[106:107]
	v_fma_f64 v[90:91], v[34:35], s[16:17], v[98:99]
	v_fma_f64 v[98:99], v[36:37], s[16:17], v[110:111]
	;; [unrolled: 1-line block ×18, first 2 shown]
	v_mul_f64 v[32:33], v[112:113], s[8:9]
	v_mul_f64 v[52:53], v[92:93], s[14:15]
	;; [unrolled: 1-line block ×21, first 2 shown]
	v_fma_f64 v[114:115], v[24:25], s[16:17], v[172:173]
	v_fma_f64 v[24:25], v[24:25], s[16:17], v[162:163]
	v_mul_f64 v[162:163], v[30:31], s[18:19]
	v_mul_f64 v[164:165], v[16:17], s[18:19]
	v_fma_f64 v[32:33], v[92:93], s[18:19], v[32:33]
	v_fma_f64 v[52:53], v[112:113], s[18:19], v[52:53]
	;; [unrolled: 1-line block ×6, first 2 shown]
	v_fma_f64 v[50:51], v[50:51], s[4:5], -v[128:129]
	v_fma_f64 v[46:47], v[46:47], s[6:7], -v[130:131]
	;; [unrolled: 1-line block ×4, first 2 shown]
	v_fma_f64 v[78:79], v[78:79], s[18:19], v[0:1]
	v_fma_f64 v[76:77], v[76:77], s[18:19], v[2:3]
	;; [unrolled: 1-line block ×4, first 2 shown]
	v_fma_f64 v[92:93], v[36:37], s[4:5], -v[142:143]
	v_fma_f64 v[112:113], v[34:35], s[6:7], -v[144:145]
	;; [unrolled: 1-line block ×4, first 2 shown]
	v_fma_f64 v[128:129], v[14:15], s[18:19], v[150:151]
	v_fma_f64 v[130:131], v[10:11], s[18:19], v[152:153]
	;; [unrolled: 1-line block ×4, first 2 shown]
	v_fma_f64 v[142:143], v[48:49], s[4:5], -v[158:159]
	v_fma_f64 v[144:145], v[44:45], s[6:7], -v[160:161]
	;; [unrolled: 1-line block ×4, first 2 shown]
	v_add_f64 v[0:1], v[96:97], v[32:33]
	v_add_f64 v[2:3], v[100:101], v[52:53]
	;; [unrolled: 1-line block ×4, first 2 shown]
	v_add_f64 v[4:5], v[96:97], -v[32:33]
	v_add_f64 v[30:31], v[56:57], v[50:51]
	v_add_f64 v[32:33], v[40:41], v[46:47]
	v_add_f64 v[36:37], v[40:41], -v[46:47]
	v_add_f64 v[38:39], v[70:71], v[74:75]
	v_add_f64 v[40:41], v[72:73], v[68:69]
	v_add_f64 v[6:7], v[100:101], -v[52:53]
	v_add_f64 v[14:15], v[58:59], -v[54:55]
	;; [unrolled: 1-line block ×6, first 2 shown]
	v_add_f64 v[46:47], v[82:83], v[78:79]
	v_add_f64 v[48:49], v[84:85], v[76:77]
	;; [unrolled: 1-line block ×6, first 2 shown]
	v_add_f64 v[50:51], v[82:83], -v[78:79]
	v_add_f64 v[80:81], v[106:107], v[126:127]
	v_add_f64 v[82:83], v[108:109], v[18:19]
	v_add_f64 v[52:53], v[84:85], -v[76:77]
	v_add_f64 v[68:69], v[90:91], -v[88:89]
	;; [unrolled: 1-line block ×7, first 2 shown]
	v_add_f64 v[88:89], v[110:111], v[128:129]
	v_add_f64 v[90:91], v[114:115], v[130:131]
	;; [unrolled: 1-line block ×6, first 2 shown]
	v_add_f64 v[92:93], v[110:111], -v[128:129]
	v_add_f64 v[94:95], v[114:115], -v[130:131]
	v_add_f64 v[100:101], v[116:117], -v[132:133]
	v_add_f64 v[102:103], v[118:119], -v[134:135]
	v_add_f64 v[110:111], v[120:121], -v[142:143]
	v_add_f64 v[112:113], v[122:123], -v[144:145]
	v_add_f64 v[114:115], v[124:125], v[146:147]
	v_add_f64 v[116:117], v[24:25], v[148:149]
	v_add_f64 v[118:119], v[124:125], -v[146:147]
	v_add_f64 v[120:121], v[24:25], -v[148:149]
	ds_write_b128 v183, v[0:3] offset:160
	ds_write_b128 v183, v[8:11] offset:320
	;; [unrolled: 1-line block ×8, first 2 shown]
	ds_write_b128 v180, v[20:23]
	ds_write_b128 v180, v[46:49] offset:160
	ds_write_b128 v180, v[54:57] offset:320
	;; [unrolled: 1-line block ×9, first 2 shown]
	ds_write_b128 v181, v[60:63]
	ds_write_b128 v181, v[88:91] offset:160
	ds_write_b128 v181, v[96:99] offset:320
	;; [unrolled: 1-line block ×9, first 2 shown]
	s_waitcnt lgkmcnt(0)
	s_barrier
	buffer_gl0_inv
	s_clause 0x1
	global_load_dwordx4 v[8:11], v[12:13], off offset:1440
	global_load_dwordx4 v[4:7], v[12:13], off offset:1456
	v_mul_lo_u16 v178, v179, 41
	global_load_dwordx4 v[20:23], v[12:13], off offset:1488
	v_mov_b32_e32 v16, 5
	v_mov_b32_e32 v17, 0x147b
	v_lshrrev_b16 v14, 2, v176
	v_lshrrev_b16 v178, 12, v178
	global_load_dwordx4 v[28:31], v[12:13], off offset:1504
	v_add_nc_u16 v32, v136, 0x168
	v_mov_b32_e32 v129, 0x2580
	v_mul_u32_u24_sdwa v14, v14, v17 dst_sel:DWORD dst_unused:UNUSED_PAD src0_sel:WORD_0 src1_sel:DWORD
	v_mul_lo_u16 v0, 0x64, v178
	v_lshlrev_b32_e32 v101, 4, v177
	s_mov_b32 s4, 0xe8584caa
	v_mul_u32_u24_sdwa v135, v178, v129 dst_sel:DWORD dst_unused:UNUSED_PAD src0_sel:WORD_0 src1_sel:DWORD
	v_lshrrev_b32_e32 v107, 17, v14
	v_sub_nc_u16 v106, v137, v0
	global_load_dwordx4 v[0:3], v[12:13], off offset:1472
	s_mov_b32 s5, 0x3febb67a
	s_mov_b32 s7, 0xbfebb67a
	v_mul_lo_u16 v19, 0x64, v107
	v_mul_u32_u24_sdwa v15, v106, v16 dst_sel:DWORD dst_unused:UNUSED_PAD src0_sel:BYTE_0 src1_sel:DWORD
	v_mul_u32_u24_e32 v137, 0x2580, v107
	v_lshlrev_b32_sdwa v146, v104, v106 dst_sel:DWORD dst_unused:UNUSED_PAD src0_sel:DWORD src1_sel:BYTE_0
	s_mov_b32 s6, s4
	v_sub_nc_u16 v108, v176, v19
	v_lshlrev_b32_e32 v18, 4, v15
	v_lshrrev_b16 v19, 2, v32
	v_mul_u32_u24_e32 v100, 5, v136
	v_mul_u32_u24_sdwa v33, v108, v16 dst_sel:DWORD dst_unused:UNUSED_PAD src0_sel:WORD_0 src1_sel:DWORD
	s_clause 0x4
	global_load_dwordx4 v[24:27], v18, s[12:13] offset:1440
	global_load_dwordx4 v[12:15], v18, s[12:13] offset:1456
	;; [unrolled: 1-line block ×5, first 2 shown]
	v_mul_u32_u24_sdwa v19, v19, v17 dst_sel:DWORD dst_unused:UNUSED_PAD src0_sel:WORD_0 src1_sel:DWORD
	v_lshlrev_b32_e32 v33, 4, v33
	v_lshlrev_b32_sdwa v147, v104, v108 dst_sel:DWORD dst_unused:UNUSED_PAD src0_sel:DWORD src1_sel:WORD_0
	v_lshlrev_b32_e32 v115, 4, v100
	v_cndmask_b32_e64 v100, 0, 0x2580, s0
	v_lshrrev_b32_e32 v109, 17, v19
	s_clause 0x2
	global_load_dwordx4 v[56:59], v33, s[12:13] offset:1440
	global_load_dwordx4 v[52:55], v33, s[12:13] offset:1456
	;; [unrolled: 1-line block ×3, first 2 shown]
	v_add_nc_u16 v19, v136, 0x1e0
	v_mul_lo_u16 v18, 0x64, v109
	s_clause 0x1
	global_load_dwordx4 v[80:83], v33, s[12:13] offset:1488
	global_load_dwordx4 v[84:87], v33, s[12:13] offset:1504
	v_mul_u32_u24_e32 v150, 0x2580, v109
	v_add3_u32 v116, 0, v100, v101
	v_sub_nc_u16 v110, v32, v18
	v_lshrrev_b16 v18, 2, v19
	v_add_co_u32 v114, s0, s12, v115
	v_add_co_ci_u32_e64 v113, null, s13, 0, s0
	v_mul_u32_u24_sdwa v32, v110, v16 dst_sel:DWORD dst_unused:UNUSED_PAD src0_sel:WORD_0 src1_sel:DWORD
	v_mul_u32_u24_sdwa v17, v18, v17 dst_sel:DWORD dst_unused:UNUSED_PAD src0_sel:WORD_0 src1_sel:DWORD
	v_lshlrev_b32_sdwa v152, v104, v110 dst_sel:DWORD dst_unused:UNUSED_PAD src0_sel:DWORD src1_sel:WORD_0
	v_add_co_u32 v100, s0, 0x2000, v114
	v_lshlrev_b32_e32 v18, 4, v32
	v_lshrrev_b32_e32 v111, 17, v17
	v_add_co_u32 v102, s1, 0x24e0, v114
	v_add_co_ci_u32_e64 v101, s0, 0, v113, s0
	s_clause 0x1
	global_load_dwordx4 v[92:95], v18, s[12:13] offset:1440
	global_load_dwordx4 v[88:91], v18, s[12:13] offset:1456
	v_mul_lo_u16 v17, 0x64, v111
	s_clause 0x1
	global_load_dwordx4 v[96:99], v18, s[12:13] offset:1472
	global_load_dwordx4 v[68:71], v18, s[12:13] offset:1488
	v_mul_u32_u24_e32 v151, 0x2580, v111
	v_add_co_ci_u32_e64 v103, s0, 0, v113, s1
	v_sub_nc_u16 v112, v19, v17
	v_mul_u32_u24_sdwa v16, v112, v16 dst_sel:DWORD dst_unused:UNUSED_PAD src0_sel:WORD_0 src1_sel:DWORD
	v_lshlrev_b32_sdwa v104, v104, v112 dst_sel:DWORD dst_unused:UNUSED_PAD src0_sel:DWORD src1_sel:WORD_0
	v_lshlrev_b32_e32 v44, 4, v16
	s_clause 0x5
	global_load_dwordx4 v[48:51], v18, s[12:13] offset:1504
	global_load_dwordx4 v[16:19], v44, s[12:13] offset:1440
	;; [unrolled: 1-line block ×6, first 2 shown]
	ds_read_b128 v[117:120], v182 offset:9600
	ds_read_b128 v[142:145], v182 offset:11520
	ds_read_b128 v[121:124], v182 offset:19200
	ds_read_b128 v[125:128], v182 offset:28800
	ds_read_b128 v[129:132], v182 offset:38400
	ds_read_b128 v[106:109], v182 offset:48000
	s_waitcnt vmcnt(24) lgkmcnt(5)
	v_mul_f64 v[133:134], v[119:120], v[10:11]
	v_mul_f64 v[10:11], v[117:118], v[10:11]
	s_waitcnt vmcnt(23) lgkmcnt(3)
	v_mul_f64 v[110:111], v[123:124], v[6:7]
	v_mul_f64 v[166:167], v[121:122], v[6:7]
	v_add3_u32 v7, 0, v135, v146
	v_add3_u32 v6, 0, v137, v147
	ds_read_b128 v[146:149], v182 offset:21120
	s_waitcnt vmcnt(22) lgkmcnt(2)
	v_mul_f64 v[172:173], v[131:132], v[22:23]
	v_mul_f64 v[22:23], v[129:130], v[22:23]
	s_waitcnt vmcnt(21) lgkmcnt(1)
	v_mul_f64 v[174:175], v[108:109], v[30:31]
	v_mul_f64 v[30:31], v[106:107], v[30:31]
	s_waitcnt vmcnt(20)
	v_mul_f64 v[168:169], v[127:128], v[2:3]
	v_mul_f64 v[170:171], v[125:126], v[2:3]
	v_add3_u32 v3, 0, v150, v152
	v_add3_u32 v2, 0, v151, v104
	ds_read_b128 v[150:153], v182 offset:30720
	ds_read_b128 v[154:157], v182 offset:26880
	;; [unrolled: 1-line block ×4, first 2 shown]
	v_fma_f64 v[133:134], v[117:118], v[8:9], -v[133:134]
	v_fma_f64 v[176:177], v[119:120], v[8:9], v[10:11]
	ds_read_b128 v[8:11], v182 offset:49920
	v_fma_f64 v[110:111], v[121:122], v[4:5], -v[110:111]
	v_fma_f64 v[4:5], v[123:124], v[4:5], v[166:167]
	v_fma_f64 v[129:130], v[129:130], v[20:21], -v[172:173]
	v_fma_f64 v[131:132], v[131:132], v[20:21], v[22:23]
	ds_read_b128 v[20:23], v182 offset:51840
	s_waitcnt vmcnt(19)
	v_mul_f64 v[178:179], v[144:145], v[26:27]
	v_mul_f64 v[180:181], v[142:143], v[26:27]
	s_waitcnt vmcnt(18) lgkmcnt(6)
	v_mul_f64 v[166:167], v[148:149], v[14:15]
	v_mul_f64 v[14:15], v[146:147], v[14:15]
	ds_read_b128 v[121:124], v182 offset:23040
	ds_read_b128 v[117:120], v182 offset:32640
	v_fma_f64 v[30:31], v[108:109], v[28:29], v[30:31]
	v_fma_f64 v[125:126], v[125:126], v[0:1], -v[168:169]
	v_fma_f64 v[0:1], v[127:128], v[0:1], v[170:171]
	s_waitcnt vmcnt(16) lgkmcnt(7)
	v_mul_f64 v[127:128], v[152:153], v[62:63]
	v_mul_f64 v[62:63], v[150:151], v[62:63]
	s_waitcnt vmcnt(15) lgkmcnt(5)
	v_mul_f64 v[168:169], v[160:161], v[74:75]
	v_mul_f64 v[74:75], v[158:159], v[74:75]
	s_waitcnt lgkmcnt(3)
	v_mul_f64 v[172:173], v[10:11], v[66:67]
	v_mul_f64 v[66:67], v[8:9], v[66:67]
	v_fma_f64 v[170:171], v[106:107], v[28:29], -v[174:175]
	ds_read_b128 v[106:109], v182 offset:24960
	ds_read_b128 v[26:29], v182 offset:42240
	s_waitcnt vmcnt(14)
	v_mul_f64 v[174:175], v[162:163], v[58:59]
	v_fma_f64 v[142:143], v[142:143], v[24:25], -v[178:179]
	v_fma_f64 v[144:145], v[144:145], v[24:25], v[180:181]
	v_mul_f64 v[24:25], v[164:165], v[58:59]
	v_fma_f64 v[146:147], v[146:147], v[12:13], -v[166:167]
	v_fma_f64 v[148:149], v[148:149], v[12:13], v[14:15]
	ds_read_b128 v[12:15], v182 offset:15360
	s_waitcnt vmcnt(10) lgkmcnt(5)
	v_mul_f64 v[180:181], v[22:23], v[86:87]
	v_mul_f64 v[86:87], v[20:21], v[86:87]
	v_fma_f64 v[127:128], v[150:151], v[60:61], -v[127:128]
	v_fma_f64 v[150:151], v[152:153], v[60:61], v[62:63]
	s_waitcnt lgkmcnt(3)
	v_mul_f64 v[152:153], v[119:120], v[78:79]
	v_mul_f64 v[78:79], v[117:118], v[78:79]
	v_fma_f64 v[172:173], v[8:9], v[64:65], -v[172:173]
	v_fma_f64 v[66:67], v[10:11], v[64:65], v[66:67]
	ds_read_b128 v[8:11], v182 offset:17280
	v_mul_f64 v[166:167], v[123:124], v[54:55]
	v_mul_f64 v[178:179], v[121:122], v[54:55]
	ds_read_b128 v[58:61], v182 offset:44160
	v_fma_f64 v[158:159], v[158:159], v[72:73], -v[168:169]
	s_waitcnt lgkmcnt(3)
	v_mul_f64 v[168:169], v[28:29], v[82:83]
	v_mul_f64 v[82:83], v[26:27], v[82:83]
	v_fma_f64 v[160:161], v[160:161], v[72:73], v[74:75]
	ds_read_b128 v[72:75], v182 offset:34560
	ds_read_b128 v[62:65], v182 offset:36480
	v_fma_f64 v[162:163], v[162:163], v[56:57], -v[24:25]
	v_fma_f64 v[164:165], v[164:165], v[56:57], v[174:175]
	ds_read_b128 v[54:57], v182 offset:53760
	s_waitcnt vmcnt(9) lgkmcnt(5)
	v_mul_f64 v[24:25], v[14:15], v[94:95]
	v_mul_f64 v[94:95], v[12:13], v[94:95]
	v_fma_f64 v[152:153], v[117:118], v[76:77], -v[152:153]
	s_waitcnt vmcnt(4) lgkmcnt(4)
	v_mul_f64 v[174:175], v[10:11], v[18:19]
	v_fma_f64 v[121:122], v[121:122], v[52:53], -v[166:167]
	v_fma_f64 v[52:53], v[123:124], v[52:53], v[178:179]
	v_mul_f64 v[123:124], v[108:109], v[90:91]
	v_mul_f64 v[90:91], v[106:107], v[90:91]
	v_fma_f64 v[166:167], v[119:120], v[76:77], v[78:79]
	ds_read_b128 v[76:79], v182 offset:46080
	ds_read_b128 v[117:120], v182 offset:55680
	v_fma_f64 v[168:169], v[26:27], v[80:81], -v[168:169]
	v_fma_f64 v[80:81], v[28:29], v[80:81], v[82:83]
	s_waitcnt lgkmcnt(4)
	v_mul_f64 v[26:27], v[74:75], v[98:99]
	v_mul_f64 v[28:29], v[72:73], v[98:99]
	v_fma_f64 v[98:99], v[20:21], v[84:85], -v[180:181]
	v_fma_f64 v[84:85], v[22:23], v[84:85], v[86:87]
	s_waitcnt lgkmcnt(2)
	v_mul_f64 v[86:87], v[56:57], v[50:51]
	v_mul_f64 v[50:51], v[54:55], v[50:51]
	;; [unrolled: 1-line block ×3, first 2 shown]
	v_fma_f64 v[180:181], v[12:13], v[92:93], -v[24:25]
	v_fma_f64 v[92:93], v[14:15], v[92:93], v[94:95]
	s_waitcnt vmcnt(3)
	v_mul_f64 v[94:95], v[156:157], v[34:35]
	v_mul_f64 v[34:35], v[154:155], v[34:35]
	s_waitcnt vmcnt(2)
	v_mul_f64 v[183:184], v[64:65], v[38:39]
	v_mul_f64 v[82:83], v[60:61], v[70:71]
	;; [unrolled: 1-line block ×4, first 2 shown]
	ds_read_b128 v[12:15], v182 offset:7680
	ds_read_b128 v[18:21], v182
	v_fma_f64 v[106:107], v[106:107], v[88:89], -v[123:124]
	v_fma_f64 v[88:89], v[108:109], v[88:89], v[90:91]
	s_waitcnt vmcnt(1) lgkmcnt(3)
	v_mul_f64 v[90:91], v[78:79], v[42:43]
	v_mul_f64 v[42:43], v[76:77], v[42:43]
	s_waitcnt vmcnt(0) lgkmcnt(2)
	v_mul_f64 v[108:109], v[119:120], v[46:47]
	v_mul_f64 v[123:124], v[117:118], v[46:47]
	v_fma_f64 v[72:73], v[72:73], v[96:97], -v[26:27]
	v_fma_f64 v[74:75], v[74:75], v[96:97], v[28:29]
	ds_read_b128 v[22:25], v182 offset:1920
	ds_read_b128 v[26:29], v182 offset:3840
	v_fma_f64 v[8:9], v[8:9], v[16:17], -v[174:175]
	v_fma_f64 v[54:55], v[54:55], v[48:49], -v[86:87]
	v_fma_f64 v[50:51], v[56:57], v[48:49], v[50:51]
	v_fma_f64 v[10:11], v[10:11], v[16:17], v[178:179]
	v_add_f64 v[56:57], v[110:111], v[129:130]
	v_add_f64 v[96:97], v[148:149], v[160:161]
	v_fma_f64 v[16:17], v[154:155], v[32:33], -v[94:95]
	v_fma_f64 v[32:33], v[156:157], v[32:33], v[34:35]
	v_fma_f64 v[34:35], v[62:63], v[36:37], -v[183:184]
	v_add_f64 v[62:63], v[4:5], v[131:132]
	v_fma_f64 v[58:59], v[58:59], v[68:69], -v[82:83]
	v_fma_f64 v[60:61], v[60:61], v[68:69], v[70:71]
	v_fma_f64 v[36:37], v[64:65], v[36:37], v[38:39]
	s_waitcnt lgkmcnt(2)
	v_add_f64 v[64:65], v[18:19], v[110:111]
	v_add_f64 v[68:69], v[20:21], v[4:5]
	v_fma_f64 v[38:39], v[76:77], v[40:41], -v[90:91]
	v_fma_f64 v[40:41], v[78:79], v[40:41], v[42:43]
	v_fma_f64 v[42:43], v[117:118], v[44:45], -v[108:109]
	v_fma_f64 v[44:45], v[119:120], v[44:45], v[123:124]
	v_add_f64 v[70:71], v[133:134], v[125:126]
	v_add_f64 v[78:79], v[125:126], v[170:171]
	v_add_f64 v[82:83], v[125:126], -v[170:171]
	v_add_f64 v[94:95], v[146:147], v[158:159]
	v_add_f64 v[117:118], v[142:143], v[127:128]
	;; [unrolled: 1-line block ×4, first 2 shown]
	v_add_f64 v[125:126], v[127:128], -v[172:173]
	v_add_f64 v[127:128], v[121:122], v[168:169]
	v_add_f64 v[154:155], v[52:53], v[80:81]
	v_add_f64 v[90:91], v[110:111], -v[129:130]
	s_waitcnt lgkmcnt(1)
	v_add_f64 v[110:111], v[24:25], v[148:149]
	ds_read_b128 v[46:49], v182 offset:5760
	v_add_f64 v[76:77], v[176:177], v[0:1]
	v_add_f64 v[86:87], v[0:1], v[30:31]
	v_add_f64 v[108:109], v[22:23], v[146:147]
	v_add_f64 v[156:157], v[150:151], v[66:67]
	s_waitcnt lgkmcnt(1)
	v_add_f64 v[174:175], v[26:27], v[121:122]
	v_add_f64 v[178:179], v[28:29], v[52:53]
	;; [unrolled: 1-line block ×4, first 2 shown]
	v_fma_f64 v[18:19], v[56:57], -0.5, v[18:19]
	v_fma_f64 v[20:21], v[62:63], -0.5, v[20:21]
	v_add_f64 v[56:57], v[152:153], v[98:99]
	v_add_f64 v[62:63], v[152:153], -v[98:99]
	v_add_f64 v[152:153], v[166:167], v[84:85]
	v_add_f64 v[4:5], v[4:5], -v[131:132]
	v_add_f64 v[150:151], v[150:151], -v[66:67]
	v_fma_f64 v[94:95], v[94:95], -0.5, v[22:23]
	v_add_f64 v[22:23], v[106:107], v[58:59]
	v_fma_f64 v[127:128], v[127:128], -0.5, v[26:27]
	v_fma_f64 v[154:155], v[154:155], -0.5, v[28:29]
	s_waitcnt lgkmcnt(0)
	v_add_f64 v[26:27], v[46:47], v[106:107]
	v_add_f64 v[28:29], v[48:49], v[88:89]
	;; [unrolled: 1-line block ×10, first 2 shown]
	v_add_f64 v[148:149], v[148:149], -v[160:161]
	v_fma_f64 v[24:25], v[96:97], -0.5, v[24:25]
	v_add_f64 v[96:97], v[88:89], v[60:61]
	v_fma_f64 v[78:79], v[78:79], -0.5, v[133:134]
	v_add_f64 v[133:134], v[14:15], v[32:33]
	v_add_f64 v[110:111], v[110:111], v[160:161]
	;; [unrolled: 1-line block ×3, first 2 shown]
	v_add_f64 v[0:1], v[0:1], -v[30:31]
	v_add_f64 v[146:147], v[146:147], -v[158:159]
	v_add_f64 v[70:71], v[70:71], v[170:171]
	v_add_f64 v[170:171], v[16:17], v[38:39]
	;; [unrolled: 1-line block ×4, first 2 shown]
	v_fma_f64 v[86:87], v[86:87], -0.5, v[176:177]
	v_add_f64 v[176:177], v[12:13], v[16:17]
	v_add_f64 v[108:109], v[108:109], v[158:159]
	;; [unrolled: 1-line block ×3, first 2 shown]
	v_fma_f64 v[144:145], v[156:157], -0.5, v[144:145]
	v_add_f64 v[156:157], v[34:35], v[42:43]
	v_add_f64 v[187:188], v[34:35], -v[42:43]
	v_fma_f64 v[34:35], v[123:124], -0.5, v[142:143]
	v_add_f64 v[123:124], v[36:37], v[44:45]
	v_add_f64 v[52:53], v[52:53], -v[80:81]
	v_add_f64 v[166:167], v[166:167], -v[84:85]
	;; [unrolled: 1-line block ×4, first 2 shown]
	v_add_f64 v[32:33], v[174:175], v[168:169]
	v_add_f64 v[36:37], v[178:179], v[80:81]
	;; [unrolled: 1-line block ×4, first 2 shown]
	v_fma_f64 v[98:99], v[152:153], -0.5, v[164:165]
	v_fma_f64 v[56:57], v[56:57], -0.5, v[162:163]
	v_add_f64 v[72:73], v[72:73], -v[54:55]
	v_add_f64 v[106:107], v[106:107], -v[58:59]
	;; [unrolled: 1-line block ×3, first 2 shown]
	v_fma_f64 v[152:153], v[22:23], -0.5, v[46:47]
	v_add_f64 v[46:47], v[26:27], v[58:59]
	v_add_f64 v[58:59], v[28:29], v[60:61]
	;; [unrolled: 1-line block ×4, first 2 shown]
	v_fma_f64 v[92:93], v[119:120], -0.5, v[92:93]
	v_fma_f64 v[119:120], v[172:173], -0.5, v[180:181]
	;; [unrolled: 1-line block ×3, first 2 shown]
	v_add_f64 v[129:130], v[133:134], v[40:41]
	v_add_f64 v[133:134], v[160:161], v[44:45]
	v_add_f64 v[88:89], v[88:89], -v[60:61]
	v_fma_f64 v[60:61], v[170:171], -0.5, v[12:13]
	v_fma_f64 v[76:77], v[76:77], -0.5, v[14:15]
	v_add_f64 v[96:97], v[176:177], v[38:39]
	v_add_f64 v[131:132], v[158:159], v[42:43]
	v_fma_f64 v[123:124], v[123:124], -0.5, v[10:11]
	v_fma_f64 v[156:157], v[156:157], -0.5, v[8:9]
	v_add_f64 v[8:9], v[64:65], v[70:71]
	v_add_f64 v[10:11], v[68:69], v[30:31]
	v_add_f64 v[12:13], v[64:65], -v[70:71]
	v_add_f64 v[14:15], v[68:69], -v[30:31]
	v_fma_f64 v[64:65], v[82:83], s[6:7], v[86:87]
	v_fma_f64 v[68:69], v[0:1], s[4:5], v[78:79]
	v_add_f64 v[189:190], v[16:17], -v[38:39]
	v_fma_f64 v[0:1], v[0:1], s[6:7], v[78:79]
	v_fma_f64 v[82:83], v[82:83], s[4:5], v[86:87]
	;; [unrolled: 1-line block ×4, first 2 shown]
	v_add_f64 v[18:19], v[110:111], v[66:67]
	v_add_f64 v[22:23], v[110:111], -v[66:67]
	v_fma_f64 v[66:67], v[125:126], s[6:7], v[144:145]
	v_fma_f64 v[86:87], v[150:151], s[4:5], v[34:35]
	v_add_f64 v[121:122], v[121:122], -v[168:169]
	v_fma_f64 v[110:111], v[150:151], s[6:7], v[34:35]
	v_fma_f64 v[125:126], v[125:126], s[4:5], v[144:145]
	;; [unrolled: 1-line block ×4, first 2 shown]
	v_add_f64 v[16:17], v[108:109], v[117:118]
	v_add_f64 v[20:21], v[108:109], -v[117:118]
	v_fma_f64 v[108:109], v[146:147], s[6:7], v[24:25]
	v_fma_f64 v[117:118], v[146:147], s[4:5], v[24:25]
	v_add_f64 v[24:25], v[32:33], v[80:81]
	v_add_f64 v[26:27], v[36:37], v[84:85]
	v_add_f64 v[28:29], v[32:33], -v[80:81]
	v_add_f64 v[30:31], v[36:37], -v[84:85]
	v_fma_f64 v[80:81], v[62:63], s[6:7], v[98:99]
	v_fma_f64 v[84:85], v[166:167], s[4:5], v[56:57]
	v_fma_f64 v[144:145], v[52:53], s[4:5], v[127:128]
	v_fma_f64 v[56:57], v[166:167], s[6:7], v[56:57]
	v_fma_f64 v[127:128], v[52:53], s[6:7], v[127:128]
	v_fma_f64 v[52:53], v[62:63], s[4:5], v[98:99]
	v_add_f64 v[32:33], v[46:47], v[54:55]
	v_add_f64 v[34:35], v[58:59], v[50:51]
	v_add_f64 v[36:37], v[46:47], -v[54:55]
	v_add_f64 v[38:39], v[58:59], -v[50:51]
	v_fma_f64 v[50:51], v[72:73], s[6:7], v[92:93]
	v_fma_f64 v[54:55], v[74:75], s[4:5], v[119:120]
	v_add_f64 v[42:43], v[129:130], v[133:134]
	v_add_f64 v[46:47], v[129:130], -v[133:134]
	v_fma_f64 v[98:99], v[106:107], s[6:7], v[48:49]
	v_fma_f64 v[58:59], v[74:75], s[6:7], v[119:120]
	;; [unrolled: 1-line block ×4, first 2 shown]
	v_add_f64 v[40:41], v[96:97], v[131:132]
	v_add_f64 v[44:45], v[96:97], -v[131:132]
	v_fma_f64 v[96:97], v[88:89], s[4:5], v[152:153]
	v_fma_f64 v[119:120], v[88:89], s[6:7], v[152:153]
	;; [unrolled: 1-line block ×6, first 2 shown]
	v_mul_f64 v[92:93], v[64:65], s[4:5]
	v_mul_f64 v[106:107], v[68:69], s[6:7]
	v_fma_f64 v[90:91], v[148:149], s[4:5], v[94:95]
	v_fma_f64 v[94:95], v[148:149], s[6:7], v[94:95]
	;; [unrolled: 1-line block ×6, first 2 shown]
	v_mul_f64 v[60:61], v[0:1], -0.5
	v_mul_f64 v[76:77], v[82:83], -0.5
	v_mul_f64 v[123:124], v[66:67], s[4:5]
	v_mul_f64 v[150:151], v[86:87], s[6:7]
	v_fma_f64 v[146:147], v[121:122], s[6:7], v[154:155]
	v_fma_f64 v[121:122], v[121:122], s[4:5], v[154:155]
	v_mul_f64 v[152:153], v[110:111], -0.5
	v_mul_f64 v[154:155], v[125:126], -0.5
	v_mul_f64 v[156:157], v[80:81], s[4:5]
	v_mul_f64 v[160:161], v[84:85], s[6:7]
	v_mul_f64 v[162:163], v[56:57], -0.5
	v_mul_f64 v[164:165], v[52:53], -0.5
	v_mul_f64 v[166:167], v[50:51], s[4:5]
	v_mul_f64 v[168:169], v[54:55], s[6:7]
	;; [unrolled: 4-line block ×3, first 2 shown]
	v_mul_f64 v[178:179], v[74:75], -0.5
	v_mul_f64 v[180:181], v[88:89], -0.5
	v_fma_f64 v[68:69], v[68:69], 0.5, v[92:93]
	v_fma_f64 v[64:65], v[64:65], 0.5, v[106:107]
	v_fma_f64 v[60:61], v[82:83], s[4:5], v[60:61]
	v_fma_f64 v[0:1], v[0:1], s[6:7], v[76:77]
	v_fma_f64 v[76:77], v[86:87], 0.5, v[123:124]
	v_fma_f64 v[66:67], v[66:67], 0.5, v[150:151]
	s_barrier
	v_fma_f64 v[82:83], v[125:126], s[4:5], v[152:153]
	v_fma_f64 v[86:87], v[110:111], s[6:7], v[154:155]
	v_fma_f64 v[84:85], v[84:85], 0.5, v[156:157]
	v_fma_f64 v[80:81], v[80:81], 0.5, v[160:161]
	v_fma_f64 v[92:93], v[52:53], s[4:5], v[162:163]
	v_fma_f64 v[106:107], v[56:57], s[6:7], v[164:165]
	v_fma_f64 v[110:111], v[54:55], 0.5, v[166:167]
	v_fma_f64 v[123:124], v[50:51], 0.5, v[168:169]
	v_fma_f64 v[125:126], v[48:49], s[4:5], v[170:171]
	v_fma_f64 v[150:151], v[58:59], s[6:7], v[172:173]
	buffer_gl0_inv
	ds_write_b128 v116, v[8:11]
	ds_write_b128 v116, v[12:15] offset:4800
	v_fma_f64 v[152:153], v[72:73], 0.5, v[174:175]
	v_fma_f64 v[154:155], v[62:63], 0.5, v[176:177]
	v_fma_f64 v[156:157], v[88:89], s[4:5], v[178:179]
	v_fma_f64 v[160:161], v[74:75], s[6:7], v[180:181]
	v_add_f64 v[8:9], v[70:71], v[68:69]
	v_add_f64 v[10:11], v[158:159], v[64:65]
	;; [unrolled: 1-line block ×4, first 2 shown]
	v_add_f64 v[12:13], v[70:71], -v[68:69]
	v_add_f64 v[14:15], v[158:159], -v[64:65]
	;; [unrolled: 1-line block ×4, first 2 shown]
	v_add_f64 v[56:57], v[90:91], v[76:77]
	v_add_f64 v[58:59], v[108:109], v[66:67]
	v_add_f64 v[62:63], v[108:109], -v[66:67]
	v_add_f64 v[64:65], v[94:95], v[82:83]
	v_add_f64 v[66:67], v[117:118], v[86:87]
	v_add_f64 v[60:61], v[90:91], -v[76:77]
	v_add_f64 v[68:69], v[94:95], -v[82:83]
	;; [unrolled: 1-line block ×3, first 2 shown]
	v_add_f64 v[72:73], v[144:145], v[84:85]
	v_add_f64 v[74:75], v[146:147], v[80:81]
	v_add_f64 v[78:79], v[146:147], -v[80:81]
	v_add_f64 v[80:81], v[127:128], v[92:93]
	v_add_f64 v[82:83], v[121:122], v[106:107]
	v_add_f64 v[76:77], v[144:145], -v[84:85]
	v_add_f64 v[84:85], v[127:128], -v[92:93]
	;; [unrolled: 1-line block ×3, first 2 shown]
	v_add_f64 v[88:89], v[96:97], v[110:111]
	v_add_f64 v[90:91], v[98:99], v[123:124]
	v_add_f64 v[92:93], v[96:97], -v[110:111]
	v_add_f64 v[94:95], v[98:99], -v[123:124]
	v_add_f64 v[96:97], v[119:120], v[125:126]
	v_add_f64 v[98:99], v[129:130], v[150:151]
	v_add_f64 v[106:107], v[119:120], -v[125:126]
	v_add_f64 v[108:109], v[129:130], -v[150:151]
	;; [unrolled: 4-line block ×4, first 2 shown]
	ds_write_b128 v116, v[8:11] offset:1600
	ds_write_b128 v116, v[48:51] offset:3200
	ds_write_b128 v116, v[12:15] offset:6400
	ds_write_b128 v116, v[52:55] offset:8000
	ds_write_b128 v7, v[16:19]
	ds_write_b128 v7, v[56:59] offset:1600
	ds_write_b128 v7, v[64:67] offset:3200
	ds_write_b128 v7, v[20:23] offset:4800
	ds_write_b128 v7, v[60:63] offset:6400
	ds_write_b128 v7, v[68:71] offset:8000
	ds_write_b128 v6, v[24:27]
	ds_write_b128 v6, v[72:75] offset:1600
	;; [unrolled: 6-line block ×4, first 2 shown]
	ds_write_b128 v2, v[125:128] offset:3200
	ds_write_b128 v2, v[44:47] offset:4800
	;; [unrolled: 1-line block ×4, first 2 shown]
	s_waitcnt lgkmcnt(0)
	s_barrier
	buffer_gl0_inv
	s_clause 0x3
	global_load_dwordx4 v[96:99], v[100:101], off offset:1248
	global_load_dwordx4 v[92:95], v[102:103], off offset:16
	;; [unrolled: 1-line block ×4, first 2 shown]
	v_add_co_u32 v0, s0, 0x4800, v114
	v_add_co_ci_u32_e64 v1, s0, 0, v113, s0
	v_add_co_u32 v2, s0, 0x4a60, v114
	global_load_dwordx4 v[80:83], v[100:101], off offset:1312
	v_add_co_ci_u32_e64 v3, s0, 0, v113, s0
	s_clause 0x3
	global_load_dwordx4 v[76:79], v[0:1], off offset:608
	global_load_dwordx4 v[72:75], v[2:3], off offset:16
	;; [unrolled: 1-line block ×4, first 2 shown]
	v_add_co_u32 v2, s0, 0x6800, v114
	global_load_dwordx4 v[60:63], v[0:1], off offset:672
	v_add_co_ci_u32_e64 v3, s0, 0, v113, s0
	v_add_co_u32 v0, s0, 0x6fe0, v114
	v_add_co_ci_u32_e64 v1, s0, 0, v113, s0
	s_clause 0x2
	global_load_dwordx4 v[56:59], v[2:3], off offset:2016
	global_load_dwordx4 v[52:55], v[0:1], off offset:16
	;; [unrolled: 1-line block ×3, first 2 shown]
	v_add_co_u32 v2, s0, 0x7000, v114
	v_add_co_ci_u32_e64 v3, s0, 0, v113, s0
	s_clause 0x1
	global_load_dwordx4 v[36:39], v[0:1], off offset:48
	global_load_dwordx4 v[32:35], v[2:3], off offset:32
	v_add_co_u32 v0, s0, 0x9000, v114
	v_add_co_ci_u32_e64 v1, s0, 0, v113, s0
	v_add_nc_u32_e32 v3, 0x9600, v115
	v_add_co_u32 v2, s0, 0x9560, v114
	global_load_dwordx4 v[158:161], v[0:1], off offset:1376
	v_add_co_u32 v4, s1, s12, v3
	v_add_co_ci_u32_e64 v3, s0, 0, v113, s0
	s_clause 0x1
	global_load_dwordx4 v[166:169], v[2:3], off offset:16
	global_load_dwordx4 v[170:173], v[2:3], off offset:32
	v_add_co_ci_u32_e64 v12, null, s13, 0, s1
	v_add_co_u32 v28, s0, 0x2000, v4
	v_add_co_u32 v20, s1, 0x24e0, v4
	v_add_co_ci_u32_e64 v29, s0, 0, v12, s0
	v_add_co_ci_u32_e64 v21, s0, 0, v12, s1
	s_clause 0x6
	global_load_dwordx4 v[8:11], v[2:3], off offset:48
	global_load_dwordx4 v[4:7], v[0:1], off offset:1440
	;; [unrolled: 1-line block ×7, first 2 shown]
	ds_read_b128 v[100:103], v182 offset:9600
	ds_read_b128 v[106:109], v182 offset:19200
	;; [unrolled: 1-line block ×16, first 2 shown]
	s_waitcnt vmcnt(24) lgkmcnt(15)
	v_mul_f64 v[110:111], v[102:103], v[98:99]
	v_mul_f64 v[98:99], v[100:101], v[98:99]
	s_waitcnt vmcnt(23) lgkmcnt(14)
	v_mul_f64 v[112:113], v[108:109], v[94:95]
	v_mul_f64 v[118:119], v[106:107], v[94:95]
	;; [unrolled: 3-line block ×6, first 2 shown]
	v_fma_f64 v[82:83], v[100:101], v[96:97], -v[110:111]
	v_fma_f64 v[86:87], v[102:103], v[96:97], v[98:99]
	ds_read_b128 v[94:97], v182 offset:49920
	ds_read_b128 v[98:101], v182 offset:51840
	v_fma_f64 v[110:111], v[106:107], v[92:93], -v[112:113]
	v_fma_f64 v[112:113], v[108:109], v[92:93], v[118:119]
	s_waitcnt vmcnt(18) lgkmcnt(10)
	v_mul_f64 v[92:93], v[144:145], v[74:75]
	v_mul_f64 v[108:109], v[142:143], v[74:75]
	v_fma_f64 v[120:121], v[114:115], v[88:89], -v[120:121]
	v_fma_f64 v[114:115], v[116:117], v[88:89], v[90:91]
	s_waitcnt vmcnt(17) lgkmcnt(7)
	v_mul_f64 v[90:91], v[152:153], v[70:71]
	v_mul_f64 v[70:71], v[150:151], v[70:71]
	v_fma_f64 v[122:123], v[122:123], v[84:85], -v[134:135]
	v_fma_f64 v[102:103], v[124:125], v[84:85], v[178:179]
	s_waitcnt vmcnt(16)
	v_mul_f64 v[84:85], v[148:149], v[66:67]
	v_fma_f64 v[106:107], v[126:127], v[80:81], -v[183:184]
	v_mul_f64 v[134:135], v[146:147], v[66:67]
	v_fma_f64 v[88:89], v[128:129], v[80:81], v[185:186]
	ds_read_b128 v[183:186], v182 offset:42240
	v_fma_f64 v[78:79], v[130:131], v[76:77], -v[187:188]
	v_fma_f64 v[80:81], v[132:133], v[76:77], v[189:190]
	ds_read_b128 v[74:77], v182 offset:44160
	s_waitcnt vmcnt(15) lgkmcnt(3)
	v_mul_f64 v[126:127], v[96:97], v[62:63]
	v_mul_f64 v[62:63], v[94:95], v[62:63]
	ds_read_b128 v[187:190], v182 offset:15360
	s_waitcnt vmcnt(14)
	v_mul_f64 v[128:129], v[156:157], v[58:59]
	v_mul_f64 v[132:133], v[154:155], v[58:59]
	ds_read_b128 v[178:181], v182 offset:24960
	v_fma_f64 v[116:117], v[142:143], v[72:73], -v[92:93]
	v_fma_f64 v[118:119], v[144:145], v[72:73], v[108:109]
	s_waitcnt vmcnt(12)
	v_mul_f64 v[142:143], v[164:165], v[42:43]
	v_mul_f64 v[144:145], v[162:163], v[42:43]
	v_fma_f64 v[130:131], v[150:151], v[68:69], -v[90:91]
	v_fma_f64 v[124:125], v[152:153], v[68:69], v[70:71]
	ds_read_b128 v[66:69], v182 offset:17280
	v_mul_f64 v[72:73], v[176:177], v[54:55]
	v_mul_f64 v[54:55], v[174:175], v[54:55]
	v_fma_f64 v[108:109], v[146:147], v[64:65], -v[84:85]
	s_waitcnt vmcnt(11) lgkmcnt(4)
	v_mul_f64 v[146:147], v[185:186], v[38:39]
	s_waitcnt vmcnt(10)
	v_mul_f64 v[150:151], v[100:101], v[34:35]
	v_fma_f64 v[92:93], v[148:149], v[64:65], v[134:135]
	v_mul_f64 v[38:39], v[183:184], v[38:39]
	v_mul_f64 v[34:35], v[98:99], v[34:35]
	v_fma_f64 v[90:91], v[94:95], v[60:61], -v[126:127]
	v_fma_f64 v[84:85], v[96:97], v[60:61], v[62:63]
	ds_read_b128 v[58:61], v182 offset:53760
	s_waitcnt vmcnt(9) lgkmcnt(3)
	v_mul_f64 v[195:196], v[189:190], v[160:161]
	v_mul_f64 v[160:161], v[187:188], v[160:161]
	ds_read_b128 v[62:65], v182 offset:36480
	v_fma_f64 v[42:43], v[154:155], v[56:57], -v[128:129]
	v_fma_f64 v[56:57], v[156:157], v[56:57], v[132:133]
	v_fma_f64 v[134:135], v[162:163], v[40:41], -v[142:143]
	v_fma_f64 v[132:133], v[164:165], v[40:41], v[144:145]
	s_waitcnt vmcnt(8) lgkmcnt(3)
	v_mul_f64 v[40:41], v[180:181], v[168:169]
	v_mul_f64 v[168:169], v[178:179], v[168:169]
	s_waitcnt vmcnt(6)
	v_mul_f64 v[142:143], v[76:77], v[10:11]
	v_fma_f64 v[126:127], v[174:175], v[52:53], -v[72:73]
	v_fma_f64 v[128:129], v[176:177], v[52:53], v[54:55]
	ds_read_b128 v[70:73], v182 offset:55680
	ds_read_b128 v[52:55], v182
	v_mul_f64 v[174:175], v[193:194], v[172:173]
	v_mul_f64 v[172:173], v[191:192], v[172:173]
	v_fma_f64 v[94:95], v[183:184], v[36:37], -v[146:147]
	v_mul_f64 v[144:145], v[74:75], v[10:11]
	v_fma_f64 v[98:99], v[98:99], v[32:33], -v[150:151]
	s_waitcnt vmcnt(4) lgkmcnt(4)
	v_mul_f64 v[150:151], v[68:69], v[14:15]
	s_waitcnt lgkmcnt(3)
	v_mul_f64 v[146:147], v[60:61], v[6:7]
	v_mul_f64 v[148:149], v[58:59], v[6:7]
	;; [unrolled: 1-line block ×3, first 2 shown]
	s_waitcnt vmcnt(3)
	v_mul_f64 v[154:155], v[46:47], v[18:19]
	v_mul_f64 v[156:157], v[44:45], v[18:19]
	v_fma_f64 v[6:7], v[187:188], v[158:159], -v[195:196]
	v_fma_f64 v[10:11], v[189:190], v[158:159], v[160:161]
	s_waitcnt vmcnt(2) lgkmcnt(2)
	v_mul_f64 v[158:159], v[64:65], v[26:27]
	v_mul_f64 v[160:161], v[62:63], v[26:27]
	s_waitcnt vmcnt(1)
	v_mul_f64 v[162:163], v[50:51], v[22:23]
	v_mul_f64 v[164:165], v[48:49], v[22:23]
	v_fma_f64 v[14:15], v[178:179], v[166:167], -v[40:41]
	v_fma_f64 v[18:19], v[180:181], v[166:167], v[168:169]
	s_waitcnt vmcnt(0) lgkmcnt(1)
	v_mul_f64 v[166:167], v[72:73], v[30:31]
	v_mul_f64 v[168:169], v[70:71], v[30:31]
	v_fma_f64 v[96:97], v[185:186], v[36:37], v[38:39]
	ds_read_b128 v[38:41], v182 offset:1920
	v_fma_f64 v[26:27], v[191:192], v[170:171], -v[174:175]
	v_fma_f64 v[22:23], v[193:194], v[170:171], v[172:173]
	v_fma_f64 v[74:75], v[74:75], v[8:9], -v[142:143]
	v_fma_f64 v[8:9], v[76:77], v[8:9], v[144:145]
	v_add_f64 v[76:77], v[116:117], v[108:109]
	v_fma_f64 v[58:59], v[58:59], v[4:5], -v[146:147]
	v_fma_f64 v[4:5], v[60:61], v[4:5], v[148:149]
	v_fma_f64 v[60:61], v[66:67], v[12:13], -v[150:151]
	v_fma_f64 v[12:13], v[68:69], v[12:13], v[152:153]
	v_fma_f64 v[44:45], v[44:45], v[16:17], -v[154:155]
	v_fma_f64 v[16:17], v[46:47], v[16:17], v[156:157]
	v_add_f64 v[142:143], v[118:119], v[92:93]
	v_fma_f64 v[46:47], v[62:63], v[24:25], -v[158:159]
	v_fma_f64 v[24:25], v[64:65], v[24:25], v[160:161]
	v_add_f64 v[62:63], v[110:111], v[122:123]
	v_add_f64 v[64:65], v[112:113], v[102:103]
	v_fma_f64 v[100:101], v[100:101], v[32:33], v[34:35]
	ds_read_b128 v[34:37], v182 offset:3840
	ds_read_b128 v[30:33], v182 offset:5760
	s_waitcnt lgkmcnt(3)
	v_add_f64 v[66:67], v[52:53], v[110:111]
	v_add_f64 v[68:69], v[54:55], v[112:113]
	v_fma_f64 v[48:49], v[48:49], v[20:21], -v[162:163]
	v_fma_f64 v[20:21], v[50:51], v[20:21], v[164:165]
	v_fma_f64 v[50:51], v[70:71], v[28:29], -v[166:167]
	v_fma_f64 v[28:29], v[72:73], v[28:29], v[168:169]
	v_add_f64 v[70:71], v[82:83], v[120:121]
	v_add_f64 v[72:73], v[86:87], v[114:115]
	s_waitcnt lgkmcnt(2)
	v_add_f64 v[144:145], v[38:39], v[116:117]
	v_add_f64 v[146:147], v[40:41], v[118:119]
	v_add_f64 v[150:151], v[80:81], v[124:125]
	v_add_f64 v[148:149], v[78:79], v[130:131]
	v_add_f64 v[152:153], v[126:127], v[94:95]
	v_add_f64 v[154:155], v[128:129], v[96:97]
	v_add_f64 v[160:161], v[42:43], v[134:135]
	v_add_f64 v[164:165], v[14:15], v[74:75]
	v_add_f64 v[166:167], v[18:19], v[8:9]
	v_add_f64 v[172:173], v[6:7], v[26:27]
	s_waitcnt lgkmcnt(1)
	v_add_f64 v[156:157], v[34:35], v[126:127]
	v_add_f64 v[158:159], v[36:37], v[128:129]
	s_waitcnt lgkmcnt(0)
	v_add_f64 v[168:169], v[30:31], v[14:15]
	v_add_f64 v[170:171], v[32:33], v[18:19]
	;; [unrolled: 1-line block ×4, first 2 shown]
	v_fma_f64 v[52:53], v[62:63], -0.5, v[52:53]
	v_fma_f64 v[54:55], v[64:65], -0.5, v[54:55]
	v_add_f64 v[62:63], v[60:61], v[46:47]
	v_add_f64 v[64:65], v[12:13], v[24:25]
	v_fma_f64 v[76:77], v[76:77], -0.5, v[38:39]
	v_fma_f64 v[40:41], v[142:143], -0.5, v[40:41]
	v_add_f64 v[38:39], v[120:121], v[106:107]
	v_add_f64 v[142:143], v[114:115], v[88:89]
	v_add_f64 v[112:113], v[112:113], -v[102:103]
	v_add_f64 v[110:111], v[110:111], -v[122:123]
	v_add_f64 v[66:67], v[66:67], v[122:123]
	v_add_f64 v[122:123], v[130:131], v[90:91]
	;; [unrolled: 1-line block ×5, first 2 shown]
	v_add_f64 v[120:121], v[120:121], -v[106:107]
	v_add_f64 v[114:115], v[114:115], -v[88:89]
	v_add_f64 v[70:71], v[70:71], v[106:107]
	v_add_f64 v[106:107], v[134:135], v[98:99]
	;; [unrolled: 1-line block ×5, first 2 shown]
	v_add_f64 v[118:119], v[118:119], -v[92:93]
	v_add_f64 v[116:117], v[116:117], -v[108:109]
	v_add_f64 v[108:109], v[144:145], v[108:109]
	v_add_f64 v[144:145], v[26:27], v[58:59]
	v_add_f64 v[185:186], v[26:27], -v[58:59]
	v_add_f64 v[26:27], v[146:147], v[92:93]
	v_add_f64 v[92:93], v[22:23], v[4:5]
	v_add_f64 v[124:125], v[124:125], -v[84:85]
	v_add_f64 v[146:147], v[18:19], -v[8:9]
	;; [unrolled: 1-line block ×3, first 2 shown]
	v_add_f64 v[18:19], v[46:47], v[50:51]
	v_add_f64 v[22:23], v[150:151], v[84:85]
	;; [unrolled: 1-line block ×5, first 2 shown]
	v_add_f64 v[134:135], v[134:135], -v[98:99]
	v_add_f64 v[128:129], v[128:129], -v[96:97]
	;; [unrolled: 1-line block ×3, first 2 shown]
	v_add_f64 v[14:15], v[148:149], v[90:91]
	v_add_f64 v[46:47], v[46:47], -v[50:51]
	v_add_f64 v[44:45], v[44:45], -v[48:49]
	;; [unrolled: 1-line block ×3, first 2 shown]
	v_fma_f64 v[150:151], v[152:153], -0.5, v[34:35]
	v_fma_f64 v[152:153], v[154:155], -0.5, v[36:37]
	v_add_f64 v[24:25], v[156:157], v[94:95]
	v_add_f64 v[34:35], v[158:159], v[96:97]
	;; [unrolled: 1-line block ×3, first 2 shown]
	v_fma_f64 v[96:97], v[164:165], -0.5, v[30:31]
	v_fma_f64 v[98:99], v[166:167], -0.5, v[32:33]
	v_add_f64 v[30:31], v[168:169], v[74:75]
	v_add_f64 v[32:33], v[170:171], v[8:9]
	;; [unrolled: 1-line block ×7, first 2 shown]
	v_fma_f64 v[64:65], v[142:143], -0.5, v[86:87]
	v_fma_f64 v[82:83], v[38:39], -0.5, v[82:83]
	v_add_f64 v[130:131], v[130:131], -v[90:91]
	v_fma_f64 v[80:81], v[102:103], -0.5, v[80:81]
	v_fma_f64 v[78:79], v[122:123], -0.5, v[78:79]
	v_add_f64 v[126:127], v[126:127], -v[94:95]
	v_add_f64 v[132:133], v[132:133], -v[100:101]
	v_add_f64 v[94:95], v[162:163], v[100:101]
	v_fma_f64 v[56:57], v[88:89], -0.5, v[56:57]
	v_fma_f64 v[42:43], v[106:107], -0.5, v[42:43]
	v_add_f64 v[156:157], v[183:184], v[20:21]
	v_fma_f64 v[86:87], v[92:93], -0.5, v[10:11]
	v_fma_f64 v[88:89], v[144:145], -0.5, v[6:7]
	;; [unrolled: 1-line block ×4, first 2 shown]
	v_add_f64 v[90:91], v[16:17], -v[20:21]
	v_fma_f64 v[100:101], v[176:177], -0.5, v[0:1]
	v_fma_f64 v[154:155], v[178:179], -0.5, v[2:3]
	v_add_f64 v[0:1], v[66:67], v[70:71]
	v_add_f64 v[2:3], v[68:69], v[72:73]
	;; [unrolled: 1-line block ×4, first 2 shown]
	v_add_f64 v[12:13], v[108:109], -v[14:15]
	v_add_f64 v[14:15], v[26:27], -v[22:23]
	v_add_f64 v[16:17], v[24:25], v[36:37]
	v_add_f64 v[20:21], v[24:25], -v[36:37]
	v_add_f64 v[24:25], v[30:31], v[58:59]
	v_add_f64 v[26:27], v[32:33], v[74:75]
	v_add_f64 v[28:29], v[30:31], -v[58:59]
	v_add_f64 v[30:31], v[32:33], -v[74:75]
	v_add_f64 v[32:33], v[48:49], v[50:51]
	v_add_f64 v[36:37], v[48:49], -v[50:51]
	v_fma_f64 v[48:49], v[120:121], s[6:7], v[64:65]
	v_fma_f64 v[50:51], v[114:115], s[4:5], v[82:83]
	v_add_f64 v[4:5], v[66:67], -v[70:71]
	v_add_f64 v[6:7], v[68:69], -v[72:73]
	v_fma_f64 v[66:67], v[114:115], s[6:7], v[82:83]
	v_fma_f64 v[64:65], v[120:121], s[4:5], v[64:65]
	;; [unrolled: 1-line block ×6, first 2 shown]
	v_add_f64 v[18:19], v[34:35], v[94:95]
	v_fma_f64 v[82:83], v[134:135], s[6:7], v[56:57]
	v_fma_f64 v[92:93], v[132:133], s[4:5], v[42:43]
	v_add_f64 v[22:23], v[34:35], -v[94:95]
	v_fma_f64 v[42:43], v[132:133], s[6:7], v[42:43]
	v_fma_f64 v[56:57], v[134:135], s[4:5], v[56:57]
	v_add_f64 v[34:35], v[156:157], v[62:63]
	v_add_f64 v[38:39], v[156:157], -v[62:63]
	v_fma_f64 v[58:59], v[112:113], s[4:5], v[52:53]
	v_fma_f64 v[62:63], v[110:111], s[6:7], v[54:55]
	;; [unrolled: 1-line block ×18, first 2 shown]
	s_barrier
	buffer_gl0_inv
	ds_write_b128 v182, v[0:3]
	ds_write_b128 v182, v[4:7] offset:28800
	ds_write_b128 v182, v[8:11] offset:1920
	;; [unrolled: 1-line block ×3, first 2 shown]
	v_mul_f64 v[0:1], v[48:49], s[4:5]
	v_mul_f64 v[2:3], v[50:51], s[6:7]
	v_mul_f64 v[4:5], v[66:67], -0.5
	v_mul_f64 v[6:7], v[64:65], -0.5
	v_mul_f64 v[8:9], v[68:69], s[4:5]
	v_mul_f64 v[10:11], v[70:71], s[6:7]
	v_mul_f64 v[12:13], v[78:79], -0.5
	v_mul_f64 v[14:15], v[80:81], -0.5
	ds_write_b128 v182, v[16:19] offset:3840
	ds_write_b128 v182, v[20:23] offset:32640
	v_mul_f64 v[16:17], v[82:83], s[4:5]
	v_mul_f64 v[18:19], v[92:93], s[6:7]
	v_mul_f64 v[20:21], v[42:43], -0.5
	v_mul_f64 v[22:23], v[56:57], -0.5
	v_mul_f64 v[46:47], v[110:111], s[4:5]
	v_mul_f64 v[84:85], v[112:113], s[6:7]
	v_fma_f64 v[94:95], v[128:129], s[4:5], v[150:151]
	v_fma_f64 v[102:103], v[126:127], s[6:7], v[152:153]
	;; [unrolled: 1-line block ×4, first 2 shown]
	v_mul_f64 v[126:127], v[88:89], -0.5
	v_mul_f64 v[128:129], v[86:87], -0.5
	v_mul_f64 v[130:131], v[118:119], s[4:5]
	v_mul_f64 v[132:133], v[120:121], s[6:7]
	v_mul_f64 v[134:135], v[60:61], -0.5
	v_mul_f64 v[142:143], v[44:45], -0.5
	v_fma_f64 v[50:51], v[50:51], 0.5, v[0:1]
	v_fma_f64 v[48:49], v[48:49], 0.5, v[2:3]
	ds_write_b128 v182, v[24:27] offset:5760
	ds_write_b128 v182, v[28:31] offset:34560
	v_fma_f64 v[24:25], v[64:65], s[4:5], v[4:5]
	v_fma_f64 v[26:27], v[66:67], s[6:7], v[6:7]
	;; [unrolled: 1-line block ×3, first 2 shown]
	v_fma_f64 v[28:29], v[70:71], 0.5, v[8:9]
	v_fma_f64 v[30:31], v[68:69], 0.5, v[10:11]
	v_fma_f64 v[40:41], v[116:117], s[4:5], v[40:41]
	v_fma_f64 v[64:65], v[80:81], s[4:5], v[12:13]
	v_fma_f64 v[66:67], v[78:79], s[6:7], v[14:15]
	v_fma_f64 v[68:69], v[92:93], 0.5, v[16:17]
	v_fma_f64 v[70:71], v[82:83], 0.5, v[18:19]
	v_fma_f64 v[56:57], v[56:57], s[4:5], v[20:21]
	v_fma_f64 v[78:79], v[42:43], s[6:7], v[22:23]
	v_fma_f64 v[114:115], v[146:147], s[4:5], v[96:97]
	v_fma_f64 v[116:117], v[187:188], s[6:7], v[98:99]
	v_fma_f64 v[80:81], v[112:113], 0.5, v[46:47]
	v_fma_f64 v[82:83], v[110:111], 0.5, v[84:85]
	v_fma_f64 v[96:97], v[146:147], s[6:7], v[96:97]
	;; [unrolled: 6-line block ×3, first 2 shown]
	v_fma_f64 v[112:113], v[60:61], s[6:7], v[142:143]
	v_add_f64 v[0:1], v[58:59], v[50:51]
	v_add_f64 v[2:3], v[62:63], v[48:49]
	v_add_f64 v[8:9], v[52:53], v[24:25]
	v_add_f64 v[10:11], v[54:55], v[26:27]
	v_add_f64 v[4:5], v[58:59], -v[50:51]
	v_add_f64 v[6:7], v[62:63], -v[48:49]
	v_add_f64 v[12:13], v[52:53], -v[24:25]
	v_add_f64 v[14:15], v[54:55], -v[26:27]
	v_add_f64 v[16:17], v[72:73], v[28:29]
	v_add_f64 v[18:19], v[74:75], v[30:31]
	v_add_f64 v[24:25], v[76:77], v[64:65]
	v_add_f64 v[26:27], v[40:41], v[66:67]
	v_add_f64 v[20:21], v[72:73], -v[28:29]
	v_add_f64 v[22:23], v[74:75], -v[30:31]
	v_add_f64 v[28:29], v[76:77], -v[64:65]
	v_add_f64 v[30:31], v[40:41], -v[66:67]
	;; [unrolled: 8-line block ×5, first 2 shown]
	ds_write_b128 v182, v[32:35] offset:7680
	ds_write_b128 v182, v[36:39] offset:36480
	;; [unrolled: 1-line block ×22, first 2 shown]
	s_waitcnt lgkmcnt(0)
	s_barrier
	buffer_gl0_inv
	s_and_saveexec_b32 s0, vcc_lo
	s_cbranch_execz .LBB0_21
; %bb.20:
	v_mul_lo_u32 v2, s3, v140
	v_mul_lo_u32 v3, s2, v141
	v_mad_u64_u32 v[0:1], null, s2, v140, 0
	v_lshl_add_u32 v26, v136, 4, 0
	v_mov_b32_e32 v137, v105
	v_lshlrev_b64 v[8:9], 4, v[138:139]
	v_add_nc_u32_e32 v104, 0x78, v136
	v_add3_u32 v1, v1, v3, v2
	v_lshlrev_b64 v[12:13], 4, v[136:137]
	v_lshlrev_b64 v[16:17], 4, v[104:105]
	v_add_nc_u32_e32 v104, 0xf0, v136
	v_lshlrev_b64 v[10:11], 4, v[0:1]
	ds_read_b128 v[0:3], v26
	ds_read_b128 v[4:7], v26 offset:1920
	v_lshlrev_b64 v[20:21], 4, v[104:105]
	v_add_nc_u32_e32 v104, 0x168, v136
	v_add_co_u32 v10, vcc_lo, s10, v10
	v_add_co_ci_u32_e32 v11, vcc_lo, s11, v11, vcc_lo
	v_add_co_u32 v30, vcc_lo, v10, v8
	v_add_co_ci_u32_e32 v31, vcc_lo, v11, v9, vcc_lo
	;; [unrolled: 2-line block ×3, first 2 shown]
	ds_read_b128 v[8:11], v26 offset:3840
	ds_read_b128 v[12:15], v26 offset:5760
	s_waitcnt lgkmcnt(3)
	global_store_dwordx4 v[18:19], v[0:3], off
	v_add_co_u32 v0, vcc_lo, v30, v16
	v_lshlrev_b64 v[2:3], 4, v[104:105]
	v_add_co_ci_u32_e32 v1, vcc_lo, v31, v17, vcc_lo
	v_add_co_u32 v16, vcc_lo, v30, v20
	v_add_co_ci_u32_e32 v17, vcc_lo, v31, v21, vcc_lo
	v_add_nc_u32_e32 v104, 0x1e0, v136
	v_add_co_u32 v2, vcc_lo, v30, v2
	v_add_co_ci_u32_e32 v3, vcc_lo, v31, v3, vcc_lo
	v_lshlrev_b64 v[18:19], 4, v[104:105]
	v_add_nc_u32_e32 v104, 0x258, v136
	s_waitcnt lgkmcnt(2)
	global_store_dwordx4 v[0:1], v[4:7], off
	s_waitcnt lgkmcnt(1)
	global_store_dwordx4 v[16:17], v[8:11], off
	;; [unrolled: 2-line block ×3, first 2 shown]
	ds_read_b128 v[0:3], v26 offset:7680
	ds_read_b128 v[4:7], v26 offset:9600
	;; [unrolled: 1-line block ×3, first 2 shown]
	v_lshlrev_b64 v[12:13], 4, v[104:105]
	v_add_nc_u32_e32 v104, 0x2d0, v136
	v_add_co_u32 v14, vcc_lo, v30, v18
	v_add_co_ci_u32_e32 v15, vcc_lo, v31, v19, vcc_lo
	v_lshlrev_b64 v[16:17], 4, v[104:105]
	v_add_co_u32 v12, vcc_lo, v30, v12
	v_add_co_ci_u32_e32 v13, vcc_lo, v31, v13, vcc_lo
	v_add_nc_u32_e32 v104, 0x348, v136
	v_add_co_u32 v16, vcc_lo, v30, v16
	v_add_co_ci_u32_e32 v17, vcc_lo, v31, v17, vcc_lo
	v_lshlrev_b64 v[18:19], 4, v[104:105]
	v_add_nc_u32_e32 v104, 0x3c0, v136
	s_waitcnt lgkmcnt(2)
	global_store_dwordx4 v[14:15], v[0:3], off
	s_waitcnt lgkmcnt(1)
	global_store_dwordx4 v[12:13], v[4:7], off
	s_waitcnt lgkmcnt(0)
	global_store_dwordx4 v[16:17], v[8:11], off
	ds_read_b128 v[0:3], v26 offset:13440
	ds_read_b128 v[4:7], v26 offset:15360
	;; [unrolled: 1-line block ×3, first 2 shown]
	v_lshlrev_b64 v[12:13], 4, v[104:105]
	v_add_nc_u32_e32 v104, 0x438, v136
	v_add_co_u32 v14, vcc_lo, v30, v18
	v_add_co_ci_u32_e32 v15, vcc_lo, v31, v19, vcc_lo
	v_lshlrev_b64 v[16:17], 4, v[104:105]
	v_add_co_u32 v12, vcc_lo, v30, v12
	v_add_co_ci_u32_e32 v13, vcc_lo, v31, v13, vcc_lo
	v_add_nc_u32_e32 v104, 0x4b0, v136
	v_add_co_u32 v16, vcc_lo, v30, v16
	v_add_co_ci_u32_e32 v17, vcc_lo, v31, v17, vcc_lo
	s_waitcnt lgkmcnt(2)
	global_store_dwordx4 v[14:15], v[0:3], off
	v_lshlrev_b64 v[14:15], 4, v[104:105]
	v_add_nc_u32_e32 v104, 0x528, v136
	s_waitcnt lgkmcnt(1)
	global_store_dwordx4 v[12:13], v[4:7], off
	s_waitcnt lgkmcnt(0)
	global_store_dwordx4 v[16:17], v[8:11], off
	ds_read_b128 v[0:3], v26 offset:19200
	ds_read_b128 v[4:7], v26 offset:21120
	;; [unrolled: 1-line block ×3, first 2 shown]
	v_lshlrev_b64 v[12:13], 4, v[104:105]
	v_add_nc_u32_e32 v104, 0x5a0, v136
	v_add_co_u32 v14, vcc_lo, v30, v14
	v_add_co_ci_u32_e32 v15, vcc_lo, v31, v15, vcc_lo
	v_lshlrev_b64 v[16:17], 4, v[104:105]
	v_add_co_u32 v12, vcc_lo, v30, v12
	v_add_co_ci_u32_e32 v13, vcc_lo, v31, v13, vcc_lo
	v_add_nc_u32_e32 v104, 0x618, v136
	v_add_co_u32 v16, vcc_lo, v30, v16
	v_add_co_ci_u32_e32 v17, vcc_lo, v31, v17, vcc_lo
	s_waitcnt lgkmcnt(2)
	global_store_dwordx4 v[14:15], v[0:3], off
	s_waitcnt lgkmcnt(1)
	global_store_dwordx4 v[12:13], v[4:7], off
	v_lshlrev_b64 v[18:19], 4, v[104:105]
	v_add_nc_u32_e32 v104, 0x690, v136
	ds_read_b128 v[0:3], v26 offset:24960
	s_waitcnt lgkmcnt(1)
	global_store_dwordx4 v[16:17], v[8:11], off
	ds_read_b128 v[4:7], v26 offset:26880
	ds_read_b128 v[8:11], v26 offset:28800
	v_lshlrev_b64 v[12:13], 4, v[104:105]
	v_add_nc_u32_e32 v104, 0x708, v136
	v_add_co_u32 v14, vcc_lo, v30, v18
	v_add_co_ci_u32_e32 v15, vcc_lo, v31, v19, vcc_lo
	v_lshlrev_b64 v[16:17], 4, v[104:105]
	v_add_co_u32 v12, vcc_lo, v30, v12
	v_add_co_ci_u32_e32 v13, vcc_lo, v31, v13, vcc_lo
	v_add_nc_u32_e32 v104, 0x780, v136
	v_add_co_u32 v16, vcc_lo, v30, v16
	v_add_co_ci_u32_e32 v17, vcc_lo, v31, v17, vcc_lo
	s_waitcnt lgkmcnt(2)
	global_store_dwordx4 v[14:15], v[0:3], off
	v_lshlrev_b64 v[14:15], 4, v[104:105]
	v_add_nc_u32_e32 v104, 0x7f8, v136
	s_waitcnt lgkmcnt(1)
	global_store_dwordx4 v[12:13], v[4:7], off
	s_waitcnt lgkmcnt(0)
	global_store_dwordx4 v[16:17], v[8:11], off
	ds_read_b128 v[0:3], v26 offset:30720
	ds_read_b128 v[4:7], v26 offset:32640
	;; [unrolled: 1-line block ×3, first 2 shown]
	v_lshlrev_b64 v[12:13], 4, v[104:105]
	v_add_nc_u32_e32 v104, 0x870, v136
	v_add_co_u32 v14, vcc_lo, v30, v14
	v_add_co_ci_u32_e32 v15, vcc_lo, v31, v15, vcc_lo
	v_lshlrev_b64 v[16:17], 4, v[104:105]
	v_add_co_u32 v12, vcc_lo, v30, v12
	v_add_co_ci_u32_e32 v13, vcc_lo, v31, v13, vcc_lo
	v_add_nc_u32_e32 v104, 0x8e8, v136
	v_add_co_u32 v16, vcc_lo, v30, v16
	v_add_co_ci_u32_e32 v17, vcc_lo, v31, v17, vcc_lo
	v_lshlrev_b64 v[18:19], 4, v[104:105]
	v_add_nc_u32_e32 v104, 0x960, v136
	s_waitcnt lgkmcnt(2)
	global_store_dwordx4 v[14:15], v[0:3], off
	s_waitcnt lgkmcnt(1)
	global_store_dwordx4 v[12:13], v[4:7], off
	;; [unrolled: 2-line block ×3, first 2 shown]
	ds_read_b128 v[0:3], v26 offset:36480
	ds_read_b128 v[4:7], v26 offset:38400
	;; [unrolled: 1-line block ×3, first 2 shown]
	v_lshlrev_b64 v[12:13], 4, v[104:105]
	v_add_nc_u32_e32 v104, 0x9d8, v136
	v_add_co_u32 v14, vcc_lo, v30, v18
	v_add_co_ci_u32_e32 v15, vcc_lo, v31, v19, vcc_lo
	v_lshlrev_b64 v[16:17], 4, v[104:105]
	v_add_co_u32 v12, vcc_lo, v30, v12
	v_add_co_ci_u32_e32 v13, vcc_lo, v31, v13, vcc_lo
	v_add_nc_u32_e32 v104, 0xa50, v136
	v_add_co_u32 v16, vcc_lo, v30, v16
	v_add_co_ci_u32_e32 v17, vcc_lo, v31, v17, vcc_lo
	s_waitcnt lgkmcnt(2)
	global_store_dwordx4 v[14:15], v[0:3], off
	s_waitcnt lgkmcnt(1)
	global_store_dwordx4 v[12:13], v[4:7], off
	;; [unrolled: 2-line block ×3, first 2 shown]
	v_lshlrev_b64 v[14:15], 4, v[104:105]
	v_add_nc_u32_e32 v104, 0xac8, v136
	ds_read_b128 v[0:3], v26 offset:42240
	ds_read_b128 v[4:7], v26 offset:44160
	;; [unrolled: 1-line block ×3, first 2 shown]
	v_lshlrev_b64 v[12:13], 4, v[104:105]
	v_add_nc_u32_e32 v104, 0xb40, v136
	v_add_co_u32 v14, vcc_lo, v30, v14
	v_add_co_ci_u32_e32 v15, vcc_lo, v31, v15, vcc_lo
	v_lshlrev_b64 v[16:17], 4, v[104:105]
	v_add_nc_u32_e32 v104, 0xbb8, v136
	v_add_co_u32 v12, vcc_lo, v30, v12
	v_add_co_ci_u32_e32 v13, vcc_lo, v31, v13, vcc_lo
	v_lshlrev_b64 v[18:19], 4, v[104:105]
	v_add_nc_u32_e32 v104, 0xc30, v136
	v_add_co_u32 v16, vcc_lo, v30, v16
	s_waitcnt lgkmcnt(2)
	global_store_dwordx4 v[14:15], v[0:3], off
	s_waitcnt lgkmcnt(1)
	global_store_dwordx4 v[12:13], v[4:7], off
	v_add_co_ci_u32_e32 v17, vcc_lo, v31, v17, vcc_lo
	v_lshlrev_b64 v[4:5], 4, v[104:105]
	v_add_co_u32 v20, vcc_lo, v30, v18
	v_add_nc_u32_e32 v104, 0xca8, v136
	v_add_co_ci_u32_e32 v21, vcc_lo, v31, v19, vcc_lo
	v_add_co_u32 v22, vcc_lo, v30, v4
	s_waitcnt lgkmcnt(0)
	global_store_dwordx4 v[16:17], v[8:11], off
	ds_read_b128 v[0:3], v26 offset:48000
	v_add_co_ci_u32_e32 v23, vcc_lo, v31, v5, vcc_lo
	ds_read_b128 v[4:7], v26 offset:49920
	ds_read_b128 v[8:11], v26 offset:51840
	;; [unrolled: 1-line block ×4, first 2 shown]
	v_lshlrev_b64 v[24:25], 4, v[104:105]
	v_add_nc_u32_e32 v104, 0xd20, v136
	v_lshlrev_b64 v[26:27], 4, v[104:105]
	v_add_nc_u32_e32 v104, 0xd98, v136
	v_add_co_u32 v24, vcc_lo, v30, v24
	v_add_co_ci_u32_e32 v25, vcc_lo, v31, v25, vcc_lo
	v_lshlrev_b64 v[28:29], 4, v[104:105]
	v_add_co_u32 v26, vcc_lo, v30, v26
	v_add_co_ci_u32_e32 v27, vcc_lo, v31, v27, vcc_lo
	v_add_co_u32 v28, vcc_lo, v30, v28
	v_add_co_ci_u32_e32 v29, vcc_lo, v31, v29, vcc_lo
	s_waitcnt lgkmcnt(4)
	global_store_dwordx4 v[20:21], v[0:3], off
	s_waitcnt lgkmcnt(3)
	global_store_dwordx4 v[22:23], v[4:7], off
	;; [unrolled: 2-line block ×5, first 2 shown]
.LBB0_21:
	s_endpgm
	.section	.rodata,"a",@progbits
	.p2align	6, 0x0
	.amdhsa_kernel fft_rtc_fwd_len3600_factors_10_10_6_6_wgs_120_tpt_120_halfLds_dp_op_CI_CI_unitstride_sbrr_C2R_dirReg
		.amdhsa_group_segment_fixed_size 0
		.amdhsa_private_segment_fixed_size 28
		.amdhsa_kernarg_size 104
		.amdhsa_user_sgpr_count 6
		.amdhsa_user_sgpr_private_segment_buffer 1
		.amdhsa_user_sgpr_dispatch_ptr 0
		.amdhsa_user_sgpr_queue_ptr 0
		.amdhsa_user_sgpr_kernarg_segment_ptr 1
		.amdhsa_user_sgpr_dispatch_id 0
		.amdhsa_user_sgpr_flat_scratch_init 0
		.amdhsa_user_sgpr_private_segment_size 0
		.amdhsa_wavefront_size32 1
		.amdhsa_uses_dynamic_stack 0
		.amdhsa_system_sgpr_private_segment_wavefront_offset 1
		.amdhsa_system_sgpr_workgroup_id_x 1
		.amdhsa_system_sgpr_workgroup_id_y 0
		.amdhsa_system_sgpr_workgroup_id_z 0
		.amdhsa_system_sgpr_workgroup_info 0
		.amdhsa_system_vgpr_workitem_id 0
		.amdhsa_next_free_vgpr 255
		.amdhsa_next_free_sgpr 32
		.amdhsa_reserve_vcc 1
		.amdhsa_reserve_flat_scratch 0
		.amdhsa_float_round_mode_32 0
		.amdhsa_float_round_mode_16_64 0
		.amdhsa_float_denorm_mode_32 3
		.amdhsa_float_denorm_mode_16_64 3
		.amdhsa_dx10_clamp 1
		.amdhsa_ieee_mode 1
		.amdhsa_fp16_overflow 0
		.amdhsa_workgroup_processor_mode 1
		.amdhsa_memory_ordered 1
		.amdhsa_forward_progress 0
		.amdhsa_shared_vgpr_count 0
		.amdhsa_exception_fp_ieee_invalid_op 0
		.amdhsa_exception_fp_denorm_src 0
		.amdhsa_exception_fp_ieee_div_zero 0
		.amdhsa_exception_fp_ieee_overflow 0
		.amdhsa_exception_fp_ieee_underflow 0
		.amdhsa_exception_fp_ieee_inexact 0
		.amdhsa_exception_int_div_zero 0
	.end_amdhsa_kernel
	.text
.Lfunc_end0:
	.size	fft_rtc_fwd_len3600_factors_10_10_6_6_wgs_120_tpt_120_halfLds_dp_op_CI_CI_unitstride_sbrr_C2R_dirReg, .Lfunc_end0-fft_rtc_fwd_len3600_factors_10_10_6_6_wgs_120_tpt_120_halfLds_dp_op_CI_CI_unitstride_sbrr_C2R_dirReg
                                        ; -- End function
	.section	.AMDGPU.csdata,"",@progbits
; Kernel info:
; codeLenInByte = 24452
; NumSgprs: 34
; NumVgprs: 255
; ScratchSize: 28
; MemoryBound: 0
; FloatMode: 240
; IeeeMode: 1
; LDSByteSize: 0 bytes/workgroup (compile time only)
; SGPRBlocks: 4
; VGPRBlocks: 31
; NumSGPRsForWavesPerEU: 34
; NumVGPRsForWavesPerEU: 255
; Occupancy: 4
; WaveLimiterHint : 1
; COMPUTE_PGM_RSRC2:SCRATCH_EN: 1
; COMPUTE_PGM_RSRC2:USER_SGPR: 6
; COMPUTE_PGM_RSRC2:TRAP_HANDLER: 0
; COMPUTE_PGM_RSRC2:TGID_X_EN: 1
; COMPUTE_PGM_RSRC2:TGID_Y_EN: 0
; COMPUTE_PGM_RSRC2:TGID_Z_EN: 0
; COMPUTE_PGM_RSRC2:TIDIG_COMP_CNT: 0
	.text
	.p2alignl 6, 3214868480
	.fill 48, 4, 3214868480
	.type	__hip_cuid_4ad0ad832d82a4b7,@object ; @__hip_cuid_4ad0ad832d82a4b7
	.section	.bss,"aw",@nobits
	.globl	__hip_cuid_4ad0ad832d82a4b7
__hip_cuid_4ad0ad832d82a4b7:
	.byte	0                               ; 0x0
	.size	__hip_cuid_4ad0ad832d82a4b7, 1

	.ident	"AMD clang version 19.0.0git (https://github.com/RadeonOpenCompute/llvm-project roc-6.4.0 25133 c7fe45cf4b819c5991fe208aaa96edf142730f1d)"
	.section	".note.GNU-stack","",@progbits
	.addrsig
	.addrsig_sym __hip_cuid_4ad0ad832d82a4b7
	.amdgpu_metadata
---
amdhsa.kernels:
  - .args:
      - .actual_access:  read_only
        .address_space:  global
        .offset:         0
        .size:           8
        .value_kind:     global_buffer
      - .offset:         8
        .size:           8
        .value_kind:     by_value
      - .actual_access:  read_only
        .address_space:  global
        .offset:         16
        .size:           8
        .value_kind:     global_buffer
      - .actual_access:  read_only
        .address_space:  global
        .offset:         24
        .size:           8
        .value_kind:     global_buffer
      - .actual_access:  read_only
        .address_space:  global
        .offset:         32
        .size:           8
        .value_kind:     global_buffer
      - .offset:         40
        .size:           8
        .value_kind:     by_value
      - .actual_access:  read_only
        .address_space:  global
        .offset:         48
        .size:           8
        .value_kind:     global_buffer
      - .actual_access:  read_only
        .address_space:  global
        .offset:         56
        .size:           8
        .value_kind:     global_buffer
      - .offset:         64
        .size:           4
        .value_kind:     by_value
      - .actual_access:  read_only
        .address_space:  global
        .offset:         72
        .size:           8
        .value_kind:     global_buffer
      - .actual_access:  read_only
        .address_space:  global
        .offset:         80
        .size:           8
        .value_kind:     global_buffer
      - .actual_access:  read_only
        .address_space:  global
        .offset:         88
        .size:           8
        .value_kind:     global_buffer
      - .actual_access:  write_only
        .address_space:  global
        .offset:         96
        .size:           8
        .value_kind:     global_buffer
    .group_segment_fixed_size: 0
    .kernarg_segment_align: 8
    .kernarg_segment_size: 104
    .language:       OpenCL C
    .language_version:
      - 2
      - 0
    .max_flat_workgroup_size: 120
    .name:           fft_rtc_fwd_len3600_factors_10_10_6_6_wgs_120_tpt_120_halfLds_dp_op_CI_CI_unitstride_sbrr_C2R_dirReg
    .private_segment_fixed_size: 28
    .sgpr_count:     34
    .sgpr_spill_count: 0
    .symbol:         fft_rtc_fwd_len3600_factors_10_10_6_6_wgs_120_tpt_120_halfLds_dp_op_CI_CI_unitstride_sbrr_C2R_dirReg.kd
    .uniform_work_group_size: 1
    .uses_dynamic_stack: false
    .vgpr_count:     255
    .vgpr_spill_count: 6
    .wavefront_size: 32
    .workgroup_processor_mode: 1
amdhsa.target:   amdgcn-amd-amdhsa--gfx1030
amdhsa.version:
  - 1
  - 2
...

	.end_amdgpu_metadata
